;; amdgpu-corpus repo=zjin-lcf/HeCBench kind=compiled arch=gfx906 opt=O3
	.amdgcn_target "amdgcn-amd-amdhsa--gfx906"
	.amdhsa_code_object_version 6
	.text
	.p2align	2                               ; -- Begin function _Z12cuda_rys_pbfPKdS0_S0_S0_
	.type	_Z12cuda_rys_pbfPKdS0_S0_S0_,@function
_Z12cuda_rys_pbfPKdS0_S0_S0_:           ; @_Z12cuda_rys_pbfPKdS0_S0_S0_
; %bb.0:
	s_waitcnt vmcnt(0) expcnt(0) lgkmcnt(0)
	s_or_saveexec_b64 s[4:5], -1
	buffer_store_dword v63, off, s[0:3], s32 offset:424 ; 4-byte Folded Spill
	buffer_store_dword v62, off, s[0:3], s32 offset:428 ; 4-byte Folded Spill
	s_mov_b64 exec, s[4:5]
	buffer_store_dword v40, off, s[0:3], s32 offset:52 ; 4-byte Folded Spill
	buffer_store_dword v41, off, s[0:3], s32 offset:48 ; 4-byte Folded Spill
	;; [unrolled: 1-line block ×13, first 2 shown]
	buffer_store_dword v61, off, s[0:3], s32 ; 4-byte Folded Spill
	v_writelane_b32 v63, s34, 0
	v_writelane_b32 v63, s35, 1
	;; [unrolled: 1-line block ×36, first 2 shown]
	flat_load_dwordx4 v[58:61], v[0:1]
	flat_load_dwordx4 v[8:11], v[0:1] offset:16
	s_waitcnt vmcnt(0) lgkmcnt(0)
	buffer_store_dword v8, off, s[0:3], s32 offset:324 ; 4-byte Folded Spill
	s_nop 0
	buffer_store_dword v9, off, s[0:3], s32 offset:328 ; 4-byte Folded Spill
	buffer_store_dword v10, off, s[0:3], s32 offset:332 ; 4-byte Folded Spill
	;; [unrolled: 1-line block ×3, first 2 shown]
	flat_load_dwordx4 v[25:28], v[0:1] offset:32
	flat_load_dwordx4 v[21:24], v[0:1] offset:48
	flat_load_dwordx4 v[29:32], v[2:3]
	flat_load_dwordx4 v[34:37], v[2:3] offset:16
                                        ; kill: killed $vgpr0 killed $vgpr1
	flat_load_dwordx4 v[50:53], v[2:3] offset:32
	flat_load_dwordx4 v[17:20], v[2:3] offset:48
	s_nop 0
	flat_load_dwordx4 v[0:3], v[4:5]
	flat_load_dwordx4 v[39:42], v[4:5] offset:16
	flat_load_dwordx4 v[43:46], v[4:5] offset:32
	;; [unrolled: 1-line block ×4, first 2 shown]
	flat_load_dwordx4 v[54:57], v[6:7]
	v_cvt_f32_f64_e32 v33, v[58:59]
	v_cvt_f32_f64_e32 v8, v[60:61]
	buffer_load_dword v58, off, s[0:3], s32 offset:324 ; 4-byte Folded Reload
	buffer_load_dword v59, off, s[0:3], s32 offset:328 ; 4-byte Folded Reload
	;; [unrolled: 1-line block ×4, first 2 shown]
	s_waitcnt vmcnt(0) lgkmcnt(0)
	v_cvt_i32_f64_e32 v47, v[25:26]
	v_cvt_i32_f64_e32 v27, v[27:28]
	v_cvt_f32_f64_e32 v26, v[34:35]
	v_cvt_i32_f64_e32 v4, v[36:37]
	v_cvt_i32_f64_e32 v5, v[50:51]
	v_cvt_f32_f64_e32 v50, v[17:18]
	v_cvt_f32_f64_e32 v34, v[0:1]
	;; [unrolled: 1-line block ×3, first 2 shown]
	v_cvt_i32_f64_e32 v0, v[45:46]
	v_cvt_f32_f64_e32 v48, v[58:59]
	v_cvt_i32_f64_e32 v38, v[60:61]
	flat_load_dwordx4 v[58:61], v[6:7] offset:16
	s_waitcnt vmcnt(0) lgkmcnt(0)
	buffer_store_dword v58, off, s[0:3], s32 offset:324 ; 4-byte Folded Spill
	s_nop 0
	buffer_store_dword v59, off, s[0:3], s32 offset:328 ; 4-byte Folded Spill
	buffer_store_dword v60, off, s[0:3], s32 offset:332 ; 4-byte Folded Spill
	buffer_store_dword v61, off, s[0:3], s32 offset:336 ; 4-byte Folded Spill
	flat_load_dwordx4 v[58:61], v[6:7] offset:32
	s_nop 0
	buffer_store_dword v21, off, s[0:3], s32 offset:356 ; 4-byte Folded Spill
	s_nop 0
	buffer_store_dword v22, off, s[0:3], s32 offset:360 ; 4-byte Folded Spill
	buffer_store_dword v23, off, s[0:3], s32 offset:364 ; 4-byte Folded Spill
	;; [unrolled: 1-line block ×3, first 2 shown]
	v_cvt_i32_f64_e32 v6, v[52:53]
	v_cvt_f32_f64_e32 v23, v[39:40]
	v_cvt_i32_f64_e32 v24, v[43:44]
	v_cvt_f32_f64_e32 v49, v[21:22]
	v_mov_b32_e32 v21, v8
	v_mov_b32_e32 v7, v19
	;; [unrolled: 1-line block ×3, first 2 shown]
	buffer_store_dword v5, off, s[0:3], s32 offset:372 ; 4-byte Folded Spill
	s_nop 0
	buffer_store_dword v6, off, s[0:3], s32 offset:376 ; 4-byte Folded Spill
	buffer_store_dword v7, off, s[0:3], s32 offset:380 ; 4-byte Folded Spill
	buffer_store_dword v8, off, s[0:3], s32 offset:384 ; 4-byte Folded Spill
	buffer_store_dword v13, off, s[0:3], s32 offset:388 ; 4-byte Folded Spill
	s_nop 0
	buffer_store_dword v14, off, s[0:3], s32 offset:392 ; 4-byte Folded Spill
	buffer_store_dword v15, off, s[0:3], s32 offset:396 ; 4-byte Folded Spill
	buffer_store_dword v16, off, s[0:3], s32 offset:400 ; 4-byte Folded Spill
	;; [unrolled: 5-line block ×3, first 2 shown]
	v_mov_b32_e32 v22, v38
	v_cvt_f32_f64_e32 v38, v[29:30]
	v_cvt_f32_f64_e32 v30, v[31:32]
	v_mov_b32_e32 v20, v48
	v_cvt_f32_f64_e32 v48, v[54:55]
	v_mul_f32_e32 v2, v38, v50
	v_add_f32_e32 v16, v49, v50
	v_mul_f32_e32 v3, v30, v50
	v_fmac_f32_e32 v2, v33, v49
	v_fmac_f32_e32 v3, v21, v49
	v_div_scale_f32 v18, s[4:5], v16, v16, v3
	v_cvt_f32_f64_e32 v32, v[56:57]
	v_cvt_i32_f64_e32 v29, v[41:42]
	s_waitcnt vmcnt(0) lgkmcnt(0)
	v_cvt_i32_f64_e32 v7, v[58:59]
	v_cvt_i32_f64_e32 v8, v[60:61]
	v_cvt_f32_f64_e32 v52, v[13:14]
	buffer_load_dword v12, off, s[0:3], s32 offset:324 ; 4-byte Folded Reload
	buffer_load_dword v13, off, s[0:3], s32 offset:328 ; 4-byte Folded Reload
	;; [unrolled: 1-line block ×4, first 2 shown]
	v_cvt_f32_f64_e32 v53, v[9:10]
	v_mul_f32_e32 v10, v26, v50
	v_div_scale_f32 v9, s[4:5], v16, v16, v2
	v_mul_f32_e32 v11, v48, v53
	v_fmac_f32_e32 v10, v20, v49
	v_add_f32_e32 v17, v52, v53
	v_fmac_f32_e32 v11, v34, v52
	v_div_scale_f32 v19, s[4:5], v16, v16, v10
	v_div_scale_f32 v35, s[4:5], v17, v17, v11
	v_mul_f32_e32 v55, v16, v17
	v_rcp_f32_e32 v36, v35
	s_waitcnt vmcnt(2)
	v_cvt_f32_f64_e32 v31, v[12:13]
	v_div_scale_f32 v12, vcc, v2, v16, v2
	v_rcp_f32_e32 v13, v9
	s_waitcnt vmcnt(0)
	v_cvt_i32_f64_e32 v1, v[14:15]
	v_rcp_f32_e32 v14, v18
	v_rcp_f32_e32 v15, v19
	v_fma_f32 v37, -v9, v13, 1.0
	v_fmac_f32_e32 v13, v37, v13
	v_fma_f32 v37, -v18, v14, 1.0
	v_fmac_f32_e32 v14, v37, v14
	;; [unrolled: 2-line block ×4, first 2 shown]
	v_mul_f32_e32 v37, v12, v13
	v_fma_f32 v39, -v9, v37, v12
	v_fmac_f32_e32 v37, v39, v13
	v_fma_f32 v9, -v9, v37, v12
	v_div_scale_f32 v12, s[4:5], v3, v16, v3
	v_div_fmas_f32 v13, v9, v13, v37
	s_mov_b64 vcc, s[4:5]
	v_mul_f32_e32 v9, v12, v14
	v_fma_f32 v37, -v18, v9, v12
	v_fmac_f32_e32 v9, v37, v14
	v_div_scale_f32 v37, s[6:7], v10, v16, v10
	v_fma_f32 v12, -v18, v9, v12
	v_div_scale_f32 v18, s[8:9], v11, v17, v11
	v_div_fmas_f32 v12, v12, v14, v9
	s_mov_b64 vcc, s[6:7]
	v_mul_f32_e32 v9, v37, v15
	v_fma_f32 v14, -v19, v9, v37
	v_fmac_f32_e32 v9, v14, v15
	v_mul_f32_e32 v14, v32, v53
	v_fmac_f32_e32 v14, v25, v52
	v_fma_f32 v19, -v19, v9, v37
	v_div_scale_f32 v37, s[4:5], v17, v17, v14
	v_div_fmas_f32 v15, v19, v15, v9
	v_mul_f32_e32 v9, v18, v36
	v_fma_f32 v19, -v35, v9, v18
	v_fmac_f32_e32 v9, v19, v36
	v_div_scale_f32 v19, s[4:5], v14, v17, v14
	v_fma_f32 v18, -v35, v9, v18
	s_mov_b64 vcc, s[8:9]
	v_div_fmas_f32 v18, v18, v36, v9
	s_mov_b64 vcc, s[4:5]
	v_rcp_f32_e32 v35, v37
	v_fma_f32 v9, -v37, v35, 1.0
	v_fmac_f32_e32 v35, v9, v35
	v_mul_f32_e32 v9, v19, v35
	v_fma_f32 v36, -v37, v9, v19
	v_fmac_f32_e32 v9, v36, v35
	v_mul_f32_e32 v36, v31, v53
	v_fmac_f32_e32 v36, v23, v52
	v_fma_f32 v19, -v37, v9, v19
	v_div_scale_f32 v37, s[6:7], v17, v17, v36
	v_div_fmas_f32 v19, v19, v35, v9
	v_rcp_f32_e32 v9, v37
	v_fma_f32 v35, -v37, v9, 1.0
	v_fmac_f32_e32 v9, v35, v9
	v_div_scale_f32 v35, vcc, v36, v17, v36
	v_mul_f32_e32 v39, v35, v9
	v_fma_f32 v51, -v37, v39, v35
	v_fmac_f32_e32 v39, v51, v9
	v_fma_f32 v35, -v37, v39, v35
	v_div_fmas_f32 v41, v35, v9, v39
	v_add_f32_e32 v9, v16, v17
	v_div_scale_f32 v35, s[4:5], v9, v9, v55
	buffer_store_dword v9, off, s[0:3], s32 offset:340 ; 4-byte Folded Spill
	v_div_fixup_f32 v36, v41, v17, v36
	v_rcp_f32_e32 v37, v35
	v_fma_f32 v39, -v35, v37, 1.0
	v_fmac_f32_e32 v37, v39, v37
	v_div_scale_f32 v39, vcc, v55, v9, v55
	v_mul_f32_e32 v51, v39, v37
	v_fma_f32 v54, -v35, v51, v39
	v_fmac_f32_e32 v51, v54, v37
	v_fma_f32 v35, -v35, v51, v39
	v_div_fmas_f32 v42, v35, v37, v51
	v_div_fixup_f32 v51, v13, v16, v2
	v_mov_b32_e32 v13, v47
	v_div_fixup_f32 v37, v12, v16, v3
	v_mov_b32_e32 v12, v27
	v_add_u32_e32 v2, v13, v22
	v_add3_u32 v2, v2, v12, v4
	v_add3_u32 v2, v2, v5, v6
	;; [unrolled: 1-line block ×5, first 2 shown]
	v_lshrrev_b32_e32 v2, 31, v40
	v_add_u32_e32 v2, v40, v2
	v_div_fixup_f32 v39, v19, v17, v14
	v_ashrrev_i32_e32 v2, 1, v2
	v_div_fixup_f32 v54, v18, v17, v11
	v_sub_f32_e32 v3, v37, v39
	v_div_fixup_f32 v35, v15, v16, v10
	buffer_store_dword v2, off, s[0:3], s32 offset:324 ; 4-byte Folded Spill
	v_sub_f32_e32 v2, v51, v54
	v_mul_f32_e32 v3, v3, v3
	v_fmac_f32_e32 v3, v2, v2
	v_sub_f32_e32 v2, v35, v36
	v_div_fixup_f32 v9, v42, v9, v55
	v_fmac_f32_e32 v3, v2, v2
	v_mul_f32_e32 v41, v9, v3
	v_cmp_lt_i32_e32 vcc, 5, v40
	buffer_store_dword v9, off, s[0:3], s32 offset:420 ; 4-byte Folded Spill
	s_and_saveexec_b64 s[4:5], vcc
	s_xor_b64 s[8:9], exec, s[4:5]
	s_cbranch_execz .LBB0_82
; %bb.1:
	buffer_load_dword v2, off, s[0:3], s32 offset:324 ; 4-byte Folded Reload
	s_waitcnt vmcnt(0)
	v_cmp_lt_i32_e32 vcc, 3, v2
	s_and_saveexec_b64 s[4:5], vcc
	s_xor_b64 s[10:11], exec, s[4:5]
	s_cbranch_execz .LBB0_41
; %bb.2:
	buffer_load_dword v2, off, s[0:3], s32 offset:324 ; 4-byte Folded Reload
	s_waitcnt vmcnt(0)
	v_cmp_eq_u32_e32 vcc, 4, v2
	s_and_saveexec_b64 s[12:13], vcc
	s_cbranch_execz .LBB0_40
; %bb.3:
	s_mov_b32 s4, 0x34a10fb0
	v_cmp_ngt_f32_e32 vcc, s4, v41
                                        ; implicit-def: $vgpr42
                                        ; implicit-def: $vgpr58
                                        ; implicit-def: $vgpr57
                                        ; implicit-def: $vgpr56
                                        ; implicit-def: $vgpr46
                                        ; implicit-def: $vgpr11
                                        ; implicit-def: $vgpr10
                                        ; implicit-def: $vgpr45
                                        ; implicit-def: $vgpr44
                                        ; implicit-def: $vgpr43
	s_and_saveexec_b64 s[4:5], vcc
	s_xor_b64 s[14:15], exec, s[4:5]
	s_cbranch_execz .LBB0_37
; %bb.4:
	v_cmp_ngt_f32_e32 vcc, 1.0, v41
                                        ; implicit-def: $vgpr42
                                        ; implicit-def: $vgpr58
                                        ; implicit-def: $vgpr57
                                        ; implicit-def: $vgpr56
                                        ; implicit-def: $vgpr46
                                        ; implicit-def: $vgpr11
                                        ; implicit-def: $vgpr10
                                        ; implicit-def: $vgpr45
                                        ; implicit-def: $vgpr44
                                        ; implicit-def: $vgpr43
	s_and_saveexec_b64 s[4:5], vcc
	s_xor_b64 s[16:17], exec, s[4:5]
	s_cbranch_execz .LBB0_34
; %bb.5:
	s_mov_b32 s4, 0x40a00000
	v_cmp_ngt_f32_e32 vcc, s4, v41
                                        ; implicit-def: $vgpr42
                                        ; implicit-def: $vgpr58
                                        ; implicit-def: $vgpr57
                                        ; implicit-def: $vgpr56
                                        ; implicit-def: $vgpr46
                                        ; implicit-def: $vgpr11
                                        ; implicit-def: $vgpr10
                                        ; implicit-def: $vgpr45
                                        ; implicit-def: $vgpr44
                                        ; implicit-def: $vgpr43
	s_and_saveexec_b64 s[4:5], vcc
	s_xor_b64 s[18:19], exec, s[4:5]
	s_cbranch_execz .LBB0_31
; %bb.6:
	s_mov_b32 s4, 0x41200000
	v_cmp_ngt_f32_e32 vcc, s4, v41
	;; [unrolled: 16-line block ×6, first 2 shown]
                                        ; implicit-def: $vgpr42
                                        ; implicit-def: $vgpr58
                                        ; implicit-def: $vgpr57
                                        ; implicit-def: $vgpr56
                                        ; implicit-def: $vgpr46
                                        ; implicit-def: $vgpr11
                                        ; implicit-def: $vgpr10
                                        ; implicit-def: $vgpr45
                                        ; implicit-def: $vgpr44
                                        ; implicit-def: $vgpr43
	s_and_saveexec_b64 s[4:5], vcc
	s_xor_b64 s[28:29], exec, s[4:5]
	s_cbranch_execz .LBB0_16
; %bb.11:
	s_mov_b32 s6, 0x3f490fdb
	v_div_scale_f32 v2, s[4:5], v41, v41, s6
	v_div_scale_f32 v3, vcc, s6, v41, s6
	s_mov_b32 s4, 0xf800000
                                        ; implicit-def: $vgpr42
                                        ; implicit-def: $vgpr58
                                        ; implicit-def: $vgpr57
                                        ; implicit-def: $vgpr56
                                        ; implicit-def: $vgpr46
                                        ; implicit-def: $vgpr45
                                        ; implicit-def: $vgpr44
                                        ; implicit-def: $vgpr43
	v_rcp_f32_e32 v10, v2
	v_fma_f32 v11, -v2, v10, 1.0
	v_fmac_f32_e32 v10, v11, v10
	v_mul_f32_e32 v11, v3, v10
	v_fma_f32 v14, -v2, v11, v3
	v_fmac_f32_e32 v11, v14, v10
	v_fma_f32 v2, -v2, v11, v3
	v_div_fmas_f32 v2, v2, v10, v11
	v_mov_b32_e32 v10, 0x260
	v_div_fixup_f32 v2, v2, v41, s6
	v_mul_f32_e32 v3, 0x4f800000, v2
	v_cmp_gt_f32_e32 vcc, s4, v2
	v_cndmask_b32_e32 v2, v2, v3, vcc
	v_sqrt_f32_e32 v3, v2
	s_mov_b32 s4, 0x426c0000
	v_cmp_ngt_f32_e64 s[4:5], s4, v41
	v_add_u32_e32 v11, -1, v3
	v_add_u32_e32 v14, 1, v3
	v_fma_f32 v15, -v11, v3, v2
	v_fma_f32 v18, -v14, v3, v2
	v_cmp_ge_f32_e64 s[6:7], 0, v15
	v_cndmask_b32_e64 v3, v3, v11, s[6:7]
	v_cmp_lt_f32_e64 s[6:7], 0, v18
	v_cndmask_b32_e64 v3, v3, v14, s[6:7]
	v_mul_f32_e32 v11, 0x37800000, v3
	v_cndmask_b32_e32 v3, v3, v11, vcc
	v_cmp_class_f32_e32 vcc, v2, v10
	v_cndmask_b32_e32 v47, v3, v2, vcc
                                        ; implicit-def: $vgpr11
                                        ; implicit-def: $vgpr10
	s_and_saveexec_b64 s[6:7], s[4:5]
	s_xor_b64 s[4:5], exec, s[6:7]
	s_cbranch_execz .LBB0_13
; %bb.12:
	v_add_f32_e32 v2, 0xbdf0ce7a, v41
	s_mov_b32 s40, 0x3df0ce7a
	v_div_scale_f32 v3, s[6:7], v2, v2, s40
	v_mul_f32_e32 v46, 0x3e8abc3d, v47
	v_mul_f32_e32 v56, 0x3d1c8fe4, v47
	;; [unrolled: 1-line block ×4, first 2 shown]
	v_rcp_f32_e32 v10, v3
	v_fma_f32 v11, -v3, v10, 1.0
	v_fmac_f32_e32 v10, v11, v10
	v_div_scale_f32 v11, vcc, s40, v2, s40
	v_mul_f32_e32 v14, v11, v10
	v_fma_f32 v15, -v3, v14, v11
	v_fmac_f32_e32 v14, v15, v10
	v_fma_f32 v3, -v3, v14, v11
	v_div_fmas_f32 v3, v3, v10, v14
	v_div_fixup_f32 v42, v3, v2, s40
	v_add_f32_e32 v2, 0xbf898b3f, v41
	s_mov_b32 s40, 0x3f898b3f
	v_div_scale_f32 v3, s[6:7], v2, v2, s40
	v_rcp_f32_e32 v10, v3
	v_fma_f32 v11, -v3, v10, 1.0
	v_fmac_f32_e32 v10, v11, v10
	v_div_scale_f32 v11, vcc, s40, v2, s40
	v_mul_f32_e32 v14, v11, v10
	v_fma_f32 v15, -v3, v14, v11
	v_fmac_f32_e32 v14, v15, v10
	v_fma_f32 v3, -v3, v14, v11
	v_div_fmas_f32 v3, v3, v10, v14
	v_div_fixup_f32 v43, v3, v2, s40
	v_add_f32_e32 v2, 0xc0458000, v41
	s_mov_b32 s40, 0x40458000
	v_div_scale_f32 v3, s[6:7], v2, v2, s40
	v_rcp_f32_e32 v10, v3
	v_fma_f32 v11, -v3, v10, 1.0
	v_fmac_f32_e32 v10, v11, v10
	v_div_scale_f32 v11, vcc, s40, v2, s40
	v_mul_f32_e32 v14, v11, v10
	v_fma_f32 v15, -v3, v14, v11
	v_fmac_f32_e32 v14, v15, v10
	v_fma_f32 v3, -v3, v14, v11
	v_div_fmas_f32 v3, v3, v10, v14
	v_div_fixup_f32 v44, v3, v2, s40
	v_add_f32_e32 v2, 0xc0cd4577, v41
	s_mov_b32 s40, 0x40cd4577
	v_div_scale_f32 v3, s[6:7], v2, v2, s40
	v_rcp_f32_e32 v10, v3
	v_fma_f32 v11, -v3, v10, 1.0
	v_fmac_f32_e32 v10, v11, v10
	v_div_scale_f32 v11, vcc, s40, v2, s40
	v_mul_f32_e32 v14, v11, v10
	v_fma_f32 v15, -v3, v14, v11
	v_fmac_f32_e32 v14, v15, v10
	v_fma_f32 v3, -v3, v14, v11
	v_div_fmas_f32 v3, v3, v10, v14
	v_div_fixup_f32 v45, v3, v2, s40
	v_add_f32_e32 v2, 0xc13cea40, v41
	s_mov_b32 s40, 0x413cea40
	v_div_scale_f32 v3, s[6:7], v2, v2, s40
                                        ; implicit-def: $vgpr41
	v_rcp_f32_e32 v10, v3
	v_fma_f32 v11, -v3, v10, 1.0
	v_fmac_f32_e32 v10, v11, v10
	v_div_scale_f32 v11, vcc, s40, v2, s40
	v_mul_f32_e32 v14, v11, v10
	v_fma_f32 v15, -v3, v14, v11
	v_fmac_f32_e32 v14, v15, v10
	v_fma_f32 v3, -v3, v14, v11
	v_div_fmas_f32 v3, v3, v10, v14
	v_mov_b32_e32 v11, v47
	v_fmac_f32_e32 v11, 0xbe8abc3d, v11
	v_fmac_f32_e32 v11, 0xbd1c8fe4, v47
	v_fmac_f32_e32 v11, 0xbac6b947, v47
	v_fmac_f32_e32 v11, 0xb710a439, v47
                                        ; implicit-def: $vgpr47
	v_div_fixup_f32 v10, v3, v2, s40
.LBB0_13:
	s_andn2_saveexec_b64 s[4:5], s[4:5]
	s_cbranch_execz .LBB0_15
; %bb.14:
	v_cmp_eq_f32_e32 vcc, 1.0, v41
	v_mov_b32_e32 v2, 0x40400000
	v_frexp_mant_f32_e32 v3, v41
	s_mov_b32 s6, 0x3f2aaaab
	v_cndmask_b32_e64 v2, v2, 1.0, vcc
	v_cmp_gt_f32_e32 vcc, s6, v3
	v_cndmask_b32_e64 v10, 1.0, 2.0, vcc
	v_mul_f32_e32 v3, v3, v10
	v_add_f32_e32 v11, 1.0, v3
	v_add_f32_e32 v14, -1.0, v11
	v_add_f32_e32 v10, -1.0, v3
	v_sub_f32_e32 v3, v3, v14
	v_rcp_f32_e32 v14, v11
	s_mov_b32 s6, 0x3f317218
	s_mov_b32 s7, 0x7f800000
	;; [unrolled: 1-line block ×3, first 2 shown]
	v_mul_f32_e32 v15, v10, v14
	v_mul_f32_e32 v18, v11, v15
	v_fma_f32 v11, v15, v11, -v18
	v_fmac_f32_e32 v11, v15, v3
	v_add_f32_e32 v3, v18, v11
	v_sub_f32_e32 v19, v10, v3
	v_sub_f32_e32 v18, v3, v18
	;; [unrolled: 1-line block ×5, first 2 shown]
	v_add_f32_e32 v3, v10, v3
	v_add_f32_e32 v3, v19, v3
	v_mul_f32_e32 v3, v14, v3
	v_add_f32_e32 v14, v15, v3
	v_sub_f32_e32 v10, v14, v15
	v_sub_f32_e32 v3, v3, v10
	v_mul_f32_e32 v10, v14, v14
	v_fma_f32 v11, v14, v14, -v10
	v_add_f32_e32 v15, v3, v3
	v_fmac_f32_e32 v11, v14, v15
	v_add_f32_e32 v15, v10, v11
	v_mov_b32_e32 v18, 0x3e91f4c4
	v_sub_f32_e32 v10, v15, v10
	v_fmac_f32_e32 v18, 0x3e76c4e1, v15
	v_mov_b32_e32 v19, 0x3ecccdef
	v_sub_f32_e32 v10, v11, v10
	v_mul_f32_e32 v11, v14, v15
	v_fmac_f32_e32 v19, v15, v18
	v_fma_f32 v18, v15, v14, -v11
	v_fmac_f32_e32 v18, v15, v3
	v_fmac_f32_e32 v18, v10, v14
	v_add_f32_e32 v42, v11, v18
	v_sub_f32_e32 v11, v42, v11
	v_sub_f32_e32 v11, v18, v11
	v_mul_f32_e32 v18, v15, v19
	v_fma_f32 v15, v15, v19, -v18
	v_fmac_f32_e32 v15, v10, v19
	v_add_f32_e32 v10, v18, v15
	v_add_f32_e32 v19, 0x3f2aaaaa, v10
	v_sub_f32_e32 v18, v10, v18
	v_sub_f32_e32 v15, v15, v18
	v_add_f32_e32 v18, 0xbf2aaaaa, v19
	v_add_f32_e32 v15, 0x31739010, v15
	v_sub_f32_e32 v10, v10, v18
	v_add_f32_e32 v10, v15, v10
	v_add_f32_e32 v15, v19, v10
	v_sub_f32_e32 v18, v19, v15
	v_add_f32_e32 v10, v10, v18
	v_mul_f32_e32 v18, v42, v15
	v_fma_f32 v19, v42, v15, -v18
	v_fmac_f32_e32 v19, v42, v10
	v_fmac_f32_e32 v19, v11, v15
	v_cvt_f64_f32_e32 v[10:11], v41
	v_ldexp_f32 v3, v3, 1
	v_frexp_exp_i32_f64_e32 v10, v[10:11]
	v_subbrev_co_u32_e32 v10, vcc, 0, v10, vcc
	v_cvt_f32_i32_e32 v10, v10
	v_mul_f32_e32 v11, 0x3f317218, v10
	v_fma_f32 v15, v10, s6, -v11
	v_fmac_f32_e32 v15, 0xb102e308, v10
	v_ldexp_f32 v10, v14, 1
	v_add_f32_e32 v14, v11, v15
	v_sub_f32_e32 v11, v14, v11
	v_sub_f32_e32 v11, v15, v11
	v_add_f32_e32 v15, v18, v19
	v_sub_f32_e32 v18, v15, v18
	v_sub_f32_e32 v18, v19, v18
	;; [unrolled: 3-line block ×3, first 2 shown]
	v_add_f32_e32 v3, v3, v18
	v_add_f32_e32 v3, v3, v10
	;; [unrolled: 1-line block ×3, first 2 shown]
	v_sub_f32_e32 v15, v10, v19
	v_sub_f32_e32 v3, v3, v15
	v_add_f32_e32 v15, v14, v10
	v_sub_f32_e32 v18, v15, v14
	v_sub_f32_e32 v19, v15, v18
	v_sub_f32_e32 v14, v14, v19
	v_sub_f32_e32 v10, v10, v18
	v_add_f32_e32 v10, v10, v14
	v_add_f32_e32 v14, v11, v3
	v_sub_f32_e32 v18, v14, v11
	v_sub_f32_e32 v19, v14, v18
	;; [unrolled: 1-line block ×4, first 2 shown]
	v_add_f32_e32 v10, v14, v10
	v_add_f32_e32 v3, v3, v11
	;; [unrolled: 1-line block ×3, first 2 shown]
	v_sub_f32_e32 v14, v11, v15
	v_sub_f32_e32 v10, v10, v14
	v_add_f32_e32 v3, v3, v10
	v_add_f32_e32 v10, v11, v3
	v_sub_f32_e32 v11, v10, v11
	v_sub_f32_e32 v3, v3, v11
	v_mul_f32_e32 v11, v2, v10
	v_fma_f32 v10, v2, v10, -v11
	v_fmac_f32_e32 v10, v2, v3
	s_movk_i32 s6, 0x204
	v_add_f32_e32 v2, v11, v10
	v_cmp_class_f32_e64 vcc, v11, s6
	v_sub_f32_e32 v3, v2, v11
	v_cndmask_b32_e32 v2, v2, v11, vcc
	v_sub_f32_e32 v3, v10, v3
	v_cmp_neq_f32_e64 vcc, |v2|, s7
	s_mov_b32 s7, 0x42b17218
	v_cndmask_b32_e32 v3, 0, v3, vcc
	v_cmp_eq_f32_e32 vcc, s7, v2
	v_mov_b32_e32 v10, 0x37000000
	v_cndmask_b32_e32 v10, 0, v10, vcc
	v_sub_f32_e32 v2, v2, v10
	v_add_f32_e32 v3, v10, v3
	v_mul_f32_e32 v10, 0x3fb8aa3b, v2
	v_fma_f32 v11, v2, s40, -v10
	v_rndne_f32_e32 v14, v10
	v_fmac_f32_e32 v11, 0x32a5705f, v2
	v_sub_f32_e32 v10, v10, v14
	v_add_f32_e32 v10, v10, v11
	v_exp_f32_e32 v10, v10
	v_cvt_i32_f32_e32 v11, v14
	s_mov_b32 s40, 0xc2ce8ed0
	v_cmp_ngt_f32_e32 vcc, s40, v2
	s_mov_b32 s40, 0x3df0ce7a
	v_ldexp_f32 v10, v10, v11
	v_cndmask_b32_e32 v10, 0, v10, vcc
	v_cmp_nlt_f32_e32 vcc, s7, v2
	v_mov_b32_e32 v11, 0x7f800000
	v_cndmask_b32_e32 v2, v11, v10, vcc
	v_fma_f32 v3, v2, v3, v2
	v_cmp_class_f32_e64 vcc, v2, s6
	v_cndmask_b32_e32 v2, v3, v2, vcc
	v_mul_f32_e32 v3, 0xbfb8aa3b, v41
	s_mov_b32 s6, 0xbfb8aa3b
	v_rndne_f32_e32 v10, v3
	v_sub_f32_e32 v14, v3, v10
	v_fma_f32 v3, v41, s6, -v3
	v_fmac_f32_e32 v3, 0xb2a5705f, v41
	v_add_f32_e32 v3, v14, v3
	v_exp_f32_e32 v3, v3
	v_cvt_i32_f32_e32 v10, v10
	s_mov_b32 s6, 0x42ce8ed0
	v_cmp_nlt_f32_e32 vcc, s6, v41
	s_mov_b32 s6, 0xc2b17218
	v_ldexp_f32 v3, v3, v10
	v_cndmask_b32_e32 v3, 0, v3, vcc
	v_cmp_ngt_f32_e32 vcc, s6, v41
	v_mov_b32_e32 v10, 0x4004ac4a
	v_cndmask_b32_e32 v3, v11, v3, vcc
	v_fmac_f32_e32 v10, 0xbcc7afde, v41
	v_mov_b32_e32 v11, 0xc281315e
	v_fmac_f32_e32 v11, v41, v10
	v_mov_b32_e32 v10, 0x44328a3f
	v_fmac_f32_e32 v10, v41, v11
	v_add_f32_e32 v11, 0xbdf0ce7a, v41
	v_div_scale_f32 v14, s[6:7], v11, v11, s40
	v_mul_f32_e64 v3, v3, |v2|
	v_mul_f32_e64 v2, |v2|, v3
	v_rcp_f32_e32 v15, v14
	v_fma_f32 v18, -v14, v15, 1.0
	v_fmac_f32_e32 v15, v18, v15
	v_div_scale_f32 v18, vcc, s40, v11, s40
	v_mul_f32_e32 v19, v18, v15
	v_fma_f32 v42, -v14, v19, v18
	v_fmac_f32_e32 v19, v42, v15
	v_fma_f32 v14, -v14, v19, v18
	v_div_fmas_f32 v14, v14, v15, v19
	v_div_fixup_f32 v42, v14, v11, s40
	v_fmac_f32_e32 v42, v10, v3
	v_mov_b32_e32 v10, 0x419a8d79
	v_fmac_f32_e32 v10, 0xbe6a5aca, v41
	v_mov_b32_e32 v11, 0xc415f195
	v_fmac_f32_e32 v11, v41, v10
	v_mov_b32_e32 v10, 0x45ced389
	v_fmac_f32_e32 v10, v41, v11
	v_add_f32_e32 v11, 0xbf898b3f, v41
	s_mov_b32 s40, 0x3f898b3f
	v_div_scale_f32 v14, s[6:7], v11, v11, s40
	v_rcp_f32_e32 v15, v14
	v_fma_f32 v18, -v14, v15, 1.0
	v_fmac_f32_e32 v15, v18, v15
	v_div_scale_f32 v18, vcc, s40, v11, s40
	v_mul_f32_e32 v19, v18, v15
	v_fma_f32 v43, -v14, v19, v18
	v_fmac_f32_e32 v19, v43, v15
	v_fma_f32 v14, -v14, v19, v18
	v_div_fmas_f32 v14, v14, v15, v19
	v_div_fixup_f32 v43, v14, v11, s40
	v_fmac_f32_e32 v43, v10, v3
	v_mov_b32_e32 v10, 0x4266bfe8
	v_fmac_f32_e32 v10, 0xbf31eeff, v41
	v_mov_b32_e32 v11, 0xc4de2153
	v_fmac_f32_e32 v11, v41, v10
	v_mov_b32_e32 v10, 0x4698a137
	v_fmac_f32_e32 v10, v41, v11
	v_add_f32_e32 v11, 0xc0458000, v41
	s_mov_b32 s40, 0x40458000
	v_div_scale_f32 v14, s[6:7], v11, v11, s40
	;; [unrolled: 20-line block ×3, first 2 shown]
	v_rcp_f32_e32 v15, v14
	v_fma_f32 v18, -v14, v15, 1.0
	v_fmac_f32_e32 v15, v18, v15
	v_div_scale_f32 v18, vcc, s40, v11, s40
	v_mul_f32_e32 v19, v18, v15
	v_fma_f32 v45, -v14, v19, v18
	v_fmac_f32_e32 v19, v45, v15
	v_fma_f32 v14, -v14, v19, v18
	v_div_fmas_f32 v14, v14, v15, v19
	v_div_fixup_f32 v45, v14, v11, s40
	v_fmac_f32_e32 v45, v10, v3
	v_mov_b32_e32 v10, 0x437bd497
	v_fmac_f32_e32 v10, 0xc055bca2, v41
	v_mov_b32_e32 v14, 0xc5ecca48
	v_fmac_f32_e32 v14, v41, v10
	v_mov_b32_e32 v11, 0x47a08a57
	v_add_f32_e32 v10, 0xc13cea40, v41
	s_mov_b32 s40, 0x413cea40
	v_fmac_f32_e32 v11, v41, v14
	v_div_scale_f32 v14, s[6:7], v10, v10, s40
	v_rcp_f32_e32 v15, v14
	v_fma_f32 v18, -v14, v15, 1.0
	v_fmac_f32_e32 v15, v18, v15
	v_div_scale_f32 v18, vcc, s40, v10, s40
	v_mul_f32_e32 v19, v18, v15
	v_fma_f32 v46, -v14, v19, v18
	v_fmac_f32_e32 v19, v46, v15
	v_fma_f32 v14, -v14, v19, v18
	v_div_fmas_f32 v14, v14, v15, v19
	v_div_fixup_f32 v10, v14, v10, s40
	v_fmac_f32_e32 v10, v11, v3
	v_mov_b32_e32 v3, 0xb4aff1cc
	v_fmac_f32_e32 v3, 0x3268c1ce, v41
	v_mov_b32_e32 v11, 0x36221549
	;; [unrolled: 2-line block ×3, first 2 shown]
	v_mul_f32_e32 v58, v11, v2
	v_fmac_f32_e32 v3, 0x35a5b5f0, v41
	v_mov_b32_e32 v11, 0x399f00d6
	v_fmac_f32_e32 v11, v41, v3
	v_mov_b32_e32 v3, 0xb9dbe18f
	v_mul_f32_e32 v57, v11, v2
	v_fmac_f32_e32 v3, 0x3761bbe5, v41
	v_mov_b32_e32 v11, 0x3b7e1663
	v_fmac_f32_e32 v11, v41, v3
	v_mov_b32_e32 v3, 0xba34432f
	v_mul_f32_e32 v56, v11, v2
	v_fmac_f32_e32 v3, 0x37afc644, v41
	v_mov_b32_e32 v11, 0x3bdb224c
	v_fmac_f32_e32 v11, v41, v3
	v_mul_f32_e32 v46, v11, v2
	v_fmac_f32_e32 v46, 0x3e8abc3d, v47
	v_fmac_f32_e32 v56, 0x3d1c8fe4, v47
	v_sub_f32_e32 v2, v47, v46
	v_fmac_f32_e32 v57, 0x3ac6b947, v47
	v_sub_f32_e32 v2, v2, v56
	;; [unrolled: 2-line block ×3, first 2 shown]
	v_sub_f32_e32 v11, v2, v58
.LBB0_15:
	s_or_b64 exec, exec, s[4:5]
                                        ; implicit-def: $vgpr41
.LBB0_16:
	s_andn2_saveexec_b64 s[28:29], s[28:29]
	s_cbranch_execz .LBB0_18
; %bb.17:
	s_mov_b32 s6, 0x3f490fdb
	v_div_scale_f32 v2, s[4:5], v41, v41, s6
	v_div_scale_f32 v3, vcc, s6, v41, s6
	s_mov_b32 s4, 0xbfb8aa3b
	v_mul_f32_e32 v11, 0xbfb8aa3b, v41
	s_mov_b32 s42, 0x3df0ce7a
	s_mov_b32 s7, 0xf800000
	;; [unrolled: 1-line block ×4, first 2 shown]
	v_mov_b32_e32 v15, 0x7f800000
	v_mov_b32_e32 v10, 0x260
	v_rcp_f32_e32 v14, v2
	v_fma_f32 v18, -v2, v14, 1.0
	v_fmac_f32_e32 v14, v18, v14
	v_mul_f32_e32 v18, v3, v14
	v_fma_f32 v19, -v2, v18, v3
	v_fmac_f32_e32 v18, v19, v14
	v_fma_f32 v2, -v2, v18, v3
	v_div_fmas_f32 v2, v2, v14, v18
	v_rndne_f32_e32 v3, v11
	v_fma_f32 v19, v41, s4, -v11
	v_sub_f32_e32 v11, v11, v3
	v_fmac_f32_e32 v19, 0xb2a5705f, v41
	v_add_f32_e32 v11, v11, v19
	v_add_f32_e32 v18, 0xbdf0ce7a, v41
	v_cvt_i32_f32_e32 v3, v3
	v_exp_f32_e32 v11, v11
	v_div_scale_f32 v19, s[4:5], v18, v18, s42
	v_div_scale_f32 v42, vcc, s42, v18, s42
	v_ldexp_f32 v3, v11, v3
	v_mov_b32_e32 v14, 0x38fb7e46
	v_fmac_f32_e32 v14, 0xb5e8af67, v41
	v_div_fixup_f32 v2, v2, v41, s6
	v_mul_f32_e32 v11, 0x4f800000, v2
	v_cmp_gt_f32_e64 s[4:5], s7, v2
	v_cndmask_b32_e64 v11, v2, v11, s[4:5]
	v_sqrt_f32_e32 v43, v11
	v_cmp_nlt_f32_e64 s[6:7], s40, v41
	v_cndmask_b32_e64 v2, 0, v3, s[6:7]
	v_cmp_ngt_f32_e64 s[6:7], s41, v41
	v_add_u32_e32 v3, -1, v43
	v_cndmask_b32_e64 v2, v15, v2, s[6:7]
	v_add_u32_e32 v15, 1, v43
	v_fma_f32 v44, -v3, v43, v11
	v_fma_f32 v45, -v15, v43, v11
	v_cmp_ge_f32_e64 s[6:7], 0, v44
	v_cndmask_b32_e64 v3, v43, v3, s[6:7]
	v_cmp_lt_f32_e64 s[6:7], 0, v45
	v_cndmask_b32_e64 v3, v3, v15, s[6:7]
	v_mul_f32_e32 v15, 0x37800000, v3
	v_cndmask_b32_e64 v3, v3, v15, s[4:5]
	v_cmp_class_f32_e64 s[4:5], v11, v10
	v_cndmask_b32_e64 v3, v3, v11, s[4:5]
	v_rcp_f32_e32 v11, v19
	s_mov_b32 s6, 0x3f898b3f
	v_mov_b32_e32 v10, 0xbc829c7e
	v_fmac_f32_e32 v10, v41, v14
	v_fma_f32 v15, -v19, v11, 1.0
	v_fmac_f32_e32 v11, v15, v11
	v_mul_f32_e32 v15, v42, v11
	v_fma_f32 v43, -v19, v15, v42
	v_fmac_f32_e32 v15, v43, v11
	v_fma_f32 v19, -v19, v15, v42
	v_div_fmas_f32 v11, v19, v11, v15
	v_add_f32_e32 v15, 0xbf898b3f, v41
	v_div_scale_f32 v19, s[4:5], v15, v15, s6
	v_div_scale_f32 v43, vcc, s6, v15, s6
	v_mov_b32_e32 v14, 0x3f913d29
	v_fmac_f32_e32 v14, v41, v10
	v_mov_b32_e32 v10, 0xc232e2f7
	v_fmac_f32_e32 v10, v41, v14
	;; [unrolled: 2-line block ×6, first 2 shown]
	v_div_fixup_f32 v42, v11, v18, s42
	v_fmac_f32_e32 v42, v2, v10
	v_mov_b32_e32 v10, 0x3a909d07
	v_fmac_f32_e32 v10, 0xb7864dc2, v41
	v_mov_b32_e32 v11, 0xbe19a50c
	v_fmac_f32_e32 v11, v41, v10
	v_rcp_f32_e32 v10, v19
	v_mov_b32_e32 v14, 0x4128e6de
	v_fmac_f32_e32 v14, v41, v11
	v_mov_b32_e32 v11, 0xc3cd3c02
	v_fma_f32 v18, -v19, v10, 1.0
	v_fmac_f32_e32 v10, v18, v10
	v_mul_f32_e32 v18, v43, v10
	v_fma_f32 v44, -v19, v18, v43
	v_fmac_f32_e32 v18, v44, v10
	v_fma_f32 v19, -v19, v18, v43
	v_fmac_f32_e32 v11, v41, v14
	v_add_f32_e32 v14, 0xc0458000, v41
	s_mov_b32 s7, 0x40458000
	v_div_fmas_f32 v10, v19, v10, v18
	v_div_scale_f32 v18, s[4:5], v14, v14, s7
	v_mov_b32_e32 v19, 0x4616682d
	v_fmac_f32_e32 v19, v41, v11
	v_mov_b32_e32 v11, 0xc804b404
	v_fmac_f32_e32 v11, v41, v19
	v_div_scale_f32 v19, vcc, s7, v14, s7
	v_mov_b32_e32 v43, 0x4981869e
	v_fmac_f32_e32 v43, v41, v11
	v_mov_b32_e32 v11, 0xca565990
	v_fmac_f32_e32 v11, v41, v43
	v_mov_b32_e32 v45, 0xcada9c2f
	v_div_fixup_f32 v43, v10, v15, s6
	v_rcp_f32_e32 v15, v18
	v_mov_b32_e32 v10, 0x3b304eed
	v_fmac_f32_e32 v43, v2, v11
	v_fmac_f32_e32 v10, 0xb83c4620, v41
	v_mov_b32_e32 v11, 0xbecd562e
	v_fmac_f32_e32 v11, v41, v10
	v_mov_b32_e32 v10, 0x41deb022
	v_fmac_f32_e32 v10, v41, v11
	v_fma_f32 v11, -v18, v15, 1.0
	v_fmac_f32_e32 v15, v11, v15
	v_mul_f32_e32 v11, v19, v15
	v_fma_f32 v44, -v18, v11, v19
	v_fmac_f32_e32 v11, v44, v15
	v_fma_f32 v18, -v18, v11, v19
	v_div_fmas_f32 v11, v18, v15, v11
	v_add_f32_e32 v15, 0xc0cd4577, v41
	s_mov_b32 s6, 0x40cd4577
	v_div_scale_f32 v18, s[4:5], v15, v15, s6
	v_mov_b32_e32 v19, 0xc4831d5a
	v_fmac_f32_e32 v19, v41, v10
	v_mov_b32_e32 v10, 0x46b92530
	v_fmac_f32_e32 v10, v41, v19
	v_div_scale_f32 v19, vcc, s6, v15, s6
	v_mov_b32_e32 v44, 0xc89c0214
	v_fmac_f32_e32 v44, v41, v10
	v_mov_b32_e32 v10, 0x4a0f5bf4
	v_fmac_f32_e32 v10, v41, v44
	v_fmac_f32_e32 v45, v41, v10
	v_div_fixup_f32 v44, v11, v14, s7
	v_mov_b32_e32 v10, 0xbb16400c
	v_fmac_f32_e32 v10, 0xb885e8a0, v41
	v_rcp_f32_e32 v11, v18
	v_mov_b32_e32 v14, 0xbd9cd29e
	v_fmac_f32_e32 v14, v41, v10
	v_fmac_f32_e32 v44, v2, v45
	v_fma_f32 v10, -v18, v11, 1.0
	v_fmac_f32_e32 v11, v10, v11
	v_mul_f32_e32 v10, v19, v11
	v_fma_f32 v45, -v18, v10, v19
	v_fmac_f32_e32 v10, v45, v11
	v_fma_f32 v18, -v18, v10, v19
	v_add_f32_e32 v19, 0xc13cea40, v41
	s_mov_b32 s7, 0x413cea40
	v_div_scale_f32 v46, s[4:5], v19, v19, s7
	v_div_fmas_f32 v10, v18, v11, v10
	v_div_scale_f32 v18, vcc, s7, v19, s7
	v_mov_b32_e32 v11, 0x411207e1
	v_fmac_f32_e32 v11, v41, v14
	v_mov_b32_e32 v14, 0xc36813b9
	v_fmac_f32_e32 v14, v41, v11
	;; [unrolled: 2-line block ×6, first 2 shown]
	v_rcp_f32_e32 v11, v46
	v_div_fixup_f32 v45, v10, v15, s6
	v_fmac_f32_e32 v45, v2, v14
	v_mov_b32_e32 v10, 0xbcb91c15
	v_fma_f32 v14, -v46, v11, 1.0
	v_fmac_f32_e32 v11, v14, v11
	v_mul_f32_e32 v14, v18, v11
	v_fma_f32 v15, -v46, v14, v18
	v_fmac_f32_e32 v14, v15, v11
	v_fma_f32 v15, -v46, v14, v18
	v_div_fmas_f32 v11, v15, v11, v14
	v_fmac_f32_e32 v10, 0xb81698a2, v41
	v_mov_b32_e32 v14, 0x3f901f16
	v_fmac_f32_e32 v14, v41, v10
	v_mov_b32_e32 v10, 0xc236b374
	;; [unrolled: 2-line block ×7, first 2 shown]
	v_fmac_f32_e32 v14, v41, v10
	v_div_fixup_f32 v10, v11, v19, s7
	v_mov_b32_e32 v11, 0x34199ec3
	v_fmac_f32_e32 v10, v2, v14
	v_fmac_f32_e32 v11, 0xaffd7e2f, v41
	v_mov_b32_e32 v14, 0xb7898a57
	v_fmac_f32_e32 v14, v41, v11
	v_mov_b32_e32 v11, 0x3a97c510
	;; [unrolled: 2-line block ×8, first 2 shown]
	v_fmac_f32_e32 v11, v41, v14
	v_mul_f32_e32 v58, v2, v11
	v_mov_b32_e32 v11, 0x370855d6
	v_fmac_f32_e32 v11, 0xb2ced85b, v41
	v_mov_b32_e32 v14, 0xba6d1b64
	v_fmac_f32_e32 v14, v41, v11
	;; [unrolled: 2-line block ×9, first 2 shown]
	v_mul_f32_e32 v57, v2, v11
	v_mov_b32_e32 v11, 0xbacaf300
	v_fmac_f32_e32 v11, 0x3799fe51, v41
	v_mov_b32_e32 v14, 0x3df2bada
	v_fmac_f32_e32 v14, v41, v11
	;; [unrolled: 2-line block ×8, first 2 shown]
	v_mov_b32_e32 v11, 0xbb120983
	v_mul_f32_e32 v56, v2, v14
	v_fmac_f32_e32 v11, 0x37e90472, v41
	v_mov_b32_e32 v14, 0x3e24f189
	v_fmac_f32_e32 v14, v41, v11
	v_mov_b32_e32 v11, 0xc10f7aa0
	;; [unrolled: 2-line block ×7, first 2 shown]
	v_fmac_f32_e32 v14, v41, v11
	v_mul_f32_e32 v46, v2, v14
	v_fmac_f32_e32 v58, 0x3710a439, v3
	v_fmac_f32_e32 v57, 0x3ac6b947, v3
	;; [unrolled: 1-line block ×5, first 2 shown]
	v_sub_f32_e32 v2, v3, v46
	v_sub_f32_e32 v2, v2, v56
	;; [unrolled: 1-line block ×4, first 2 shown]
.LBB0_18:
	s_or_b64 exec, exec, s[28:29]
                                        ; implicit-def: $vgpr41
.LBB0_19:
	s_andn2_saveexec_b64 s[4:5], s[26:27]
	s_cbranch_execz .LBB0_21
; %bb.20:
	v_add_f32_e32 v2, 0xc1b40000, v41
	v_mov_b32_e32 v3, 0x280532ff
	v_fmac_f32_e32 v3, 0xa6a42ff5, v2
	v_mov_b32_e32 v10, 0x2a22cd9f
	v_fmac_f32_e32 v10, v2, v3
	;; [unrolled: 2-line block ×20, first 2 shown]
	v_mov_b32_e32 v43, 0x3d4d256d
	v_mov_b32_e32 v3, 0xa95c6a33
	v_fmac_f32_e32 v43, v2, v10
	v_fmac_f32_e32 v3, 0x270e00c0, v2
	v_mov_b32_e32 v10, 0x29ffe8d7
	v_fmac_f32_e32 v10, v2, v3
	v_mov_b32_e32 v3, 0x2d04c115
	v_fmac_f32_e32 v3, v2, v10
	v_mov_b32_e32 v10, 0xaed3e3de
	v_fmac_f32_e32 v10, v2, v3
	v_mov_b32_e32 v3, 0xaeb66e22
	v_fmac_f32_e32 v3, v2, v10
	v_mov_b32_e32 v10, 0x32016f5d
	v_fmac_f32_e32 v10, v2, v3
	v_mov_b32_e32 v3, 0x3490f41d
	v_fmac_f32_e32 v3, v2, v10
	v_mov_b32_e32 v10, 0xb76fe272
	v_fmac_f32_e32 v10, v2, v3
	v_mov_b32_e32 v3, 0x39c6555a
	v_fmac_f32_e32 v3, v2, v10
	v_mov_b32_e32 v10, 0xbc0395d7
	v_fmac_f32_e32 v10, v2, v3
	v_mov_b32_e32 v44, 0x3e227f7e
	v_mov_b32_e32 v3, 0xaa2f78e1
	v_fmac_f32_e32 v44, v2, v10
	v_fmac_f32_e32 v3, 0x2870bf87, v2
	v_mov_b32_e32 v10, 0xab53bedb
	v_fmac_f32_e32 v10, v2, v3
	v_mov_b32_e32 v3, 0x2e0d27fe
	v_fmac_f32_e32 v3, v2, v10
	v_mov_b32_e32 v10, 0xaf6436c9
	v_fmac_f32_e32 v10, v2, v3
	v_mov_b32_e32 v3, 0xb10e49f5
	v_fmac_f32_e32 v3, v2, v10
	v_mov_b32_e32 v10, 0x31fb9e34
	v_fmac_f32_e32 v10, v2, v3
	v_mov_b32_e32 v3, 0x35f880c4
	v_fmac_f32_e32 v3, v2, v10
	v_mov_b32_e32 v10, 0xb885b2da
	v_fmac_f32_e32 v10, v2, v3
	v_mov_b32_e32 v3, 0x3ab34cf1
	v_fmac_f32_e32 v3, v2, v10
	v_mov_b32_e32 v10, 0xbcc649cd
	v_fmac_f32_e32 v10, v2, v3
	;; [unrolled: 22-line block ×4, first 2 shown]
	v_mov_b32_e32 v3, 0xa990e2e4
	v_fmac_f32_e32 v3, 0x27c70426, v2
	v_mov_b32_e32 v14, 0xaa84c8f2
	v_fmac_f32_e32 v14, v2, v3
	;; [unrolled: 2-line block ×45, first 2 shown]
.LBB0_21:
	s_or_b64 exec, exec, s[4:5]
                                        ; implicit-def: $vgpr41
.LBB0_22:
	s_andn2_saveexec_b64 s[4:5], s[24:25]
	s_cbranch_execz .LBB0_24
; %bb.23:
	v_add_f32_e32 v2, 0xc18c0000, v41
	v_mov_b32_e32 v3, 0x2661d98f
	v_fmac_f32_e32 v3, 0x255d37bb, v2
	v_mov_b32_e32 v10, 0xa912db57
	v_fmac_f32_e32 v10, v2, v3
	;; [unrolled: 2-line block ×10, first 2 shown]
	v_mov_b32_e32 v42, 0x3bdad080
	v_mov_b32_e32 v3, 0x28371982
	v_fmac_f32_e32 v42, v2, v10
	v_fmac_f32_e32 v3, 0x27121e07, v2
	v_mov_b32_e32 v10, 0xaabe943b
	v_fmac_f32_e32 v10, v2, v3
	v_mov_b32_e32 v3, 0xabe36223
	v_fmac_f32_e32 v3, v2, v10
	v_mov_b32_e32 v10, 0x2e471e35
	v_fmac_f32_e32 v10, v2, v3
	v_mov_b32_e32 v3, 0x2fd3db98
	v_fmac_f32_e32 v3, v2, v10
	v_mov_b32_e32 v10, 0xb24b8393
	v_fmac_f32_e32 v10, v2, v3
	v_mov_b32_e32 v3, 0x3410ba0f
	v_fmac_f32_e32 v3, v2, v10
	v_mov_b32_e32 v10, 0xb69640b8
	v_fmac_f32_e32 v10, v2, v3
	v_mov_b32_e32 v3, 0x39227821
	v_fmac_f32_e32 v3, v2, v10
	v_mov_b32_e32 v10, 0xbb68ff12
	v_fmac_f32_e32 v10, v2, v3
	v_mov_b32_e32 v43, 0x3d8413f9
	v_mov_b32_e32 v3, 0x2987366b
	v_fmac_f32_e32 v43, v2, v10
	v_fmac_f32_e32 v3, 0x280c7c45, v2
	v_mov_b32_e32 v10, 0xabafe40f
	v_fmac_f32_e32 v10, v2, v3
	v_mov_b32_e32 v3, 0xad33912c
	v_fmac_f32_e32 v3, v2, v10
	v_mov_b32_e32 v10, 0x2f47878a
	v_fmac_f32_e32 v10, v2, v3
	v_mov_b32_e32 v3, 0x30f2c595
	v_fmac_f32_e32 v3, v2, v10
	v_mov_b32_e32 v10, 0xb345b8ac
	v_fmac_f32_e32 v10, v2, v3
	v_mov_b32_e32 v3, 0x351d68cd
	v_fmac_f32_e32 v3, v2, v10
	v_mov_b32_e32 v10, 0xb7aaf51e
	v_fmac_f32_e32 v10, v2, v3
	v_mov_b32_e32 v3, 0x3a2584e2
	v_fmac_f32_e32 v3, v2, v10
	v_mov_b32_e32 v10, 0xbc55290c
	v_fmac_f32_e32 v10, v2, v3
	;; [unrolled: 22-line block ×3, first 2 shown]
	v_mov_b32_e32 v3, 0xbd3277c1
	v_fmac_f32_e32 v3, v2, v10
	v_mov_b32_e32 v45, 0x3f0fea6b
	v_fmac_f32_e32 v45, v2, v3
	;; [unrolled: 2-line block ×24, first 2 shown]
	v_mov_b32_e32 v11, 0x3e14c917
	v_mov_b32_e32 v3, 0x27054fe0
	v_fmac_f32_e32 v11, v2, v14
	v_fmac_f32_e32 v3, 0xa6a0414f, v2
	v_mov_b32_e32 v14, 0x2a096dcd
	v_fmac_f32_e32 v14, v2, v3
	v_mov_b32_e32 v3, 0x2bb3732b
	v_fmac_f32_e32 v3, v2, v14
	v_mov_b32_e32 v14, 0xae6aefc2
	v_fmac_f32_e32 v14, v2, v3
	v_mov_b32_e32 v3, 0x30295a72
	v_fmac_f32_e32 v3, v2, v14
	v_mov_b32_e32 v14, 0xb22d5ecb
	v_fmac_f32_e32 v14, v2, v3
	v_mov_b32_e32 v3, 0x349c1d5d
	v_fmac_f32_e32 v3, v2, v14
	v_mov_b32_e32 v14, 0xb6cd742c
	v_fmac_f32_e32 v14, v2, v3
	v_mov_b32_e32 v3, 0x38d1ef2b
	v_fmac_f32_e32 v3, v2, v14
	v_mov_b32_e32 v14, 0xbaecd13e
	v_fmac_f32_e32 v14, v2, v3
	v_mov_b32_e32 v46, 0x3d6cc0bb
	v_mov_b32_e32 v3, 0x27f0a4f0
	v_fmac_f32_e32 v46, v2, v14
	v_fmac_f32_e32 v3, 0xa688e20b, v2
	v_mov_b32_e32 v14, 0x273bcb3b
	v_fmac_f32_e32 v14, v2, v3
	v_mov_b32_e32 v3, 0x2c0b98f6
	v_fmac_f32_e32 v3, v2, v14
	v_mov_b32_e32 v14, 0xae6d84c5
	v_fmac_f32_e32 v14, v2, v3
	v_mov_b32_e32 v3, 0x30367714
	v_fmac_f32_e32 v3, v2, v14
	v_mov_b32_e32 v14, 0xb2172cb1
	v_fmac_f32_e32 v14, v2, v3
	v_mov_b32_e32 v3, 0x34405a23
	v_fmac_f32_e32 v3, v2, v14
	v_mov_b32_e32 v14, 0xb646b15e
	v_fmac_f32_e32 v14, v2, v3
	v_mov_b32_e32 v3, 0x380dc781
	v_fmac_f32_e32 v3, v2, v14
	v_mov_b32_e32 v14, 0xb9bbeb3d
	v_fmac_f32_e32 v14, v2, v3
	v_mov_b32_e32 v56, 0x3c097f2d
	v_mov_b32_e32 v3, 0xa5c6c9ae
	v_fmac_f32_e32 v56, v2, v14
	v_fmac_f32_e32 v3, 0x2376df6b, v2
	v_mov_b32_e32 v14, 0x27aaf4fd
	v_fmac_f32_e32 v14, v2, v3
	v_mov_b32_e32 v3, 0xa987de92
	v_fmac_f32_e32 v3, v2, v14
	v_mov_b32_e32 v14, 0x2b93ab6f
	v_fmac_f32_e32 v14, v2, v3
	v_mov_b32_e32 v3, 0xad964a34
	v_fmac_f32_e32 v3, v2, v14
	v_mov_b32_e32 v14, 0x2f6ca2e2
	v_fmac_f32_e32 v14, v2, v3
	v_mov_b32_e32 v3, 0xb12dafa6
	v_fmac_f32_e32 v3, v2, v14
	v_mov_b32_e32 v14, 0x330cc5c8
	v_fmac_f32_e32 v14, v2, v3
	v_mov_b32_e32 v3, 0xb4d19679
	v_fmac_f32_e32 v3, v2, v14
	v_mov_b32_e32 v14, 0x36686ccb
	v_fmac_f32_e32 v14, v2, v3
	v_mov_b32_e32 v3, 0xb7cc0a9b
	v_fmac_f32_e32 v3, v2, v14
	v_mov_b32_e32 v57, 0x39ba0ac1
	v_fmac_f32_e32 v57, v2, v3
	;; [unrolled: 2-line block ×16, first 2 shown]
.LBB0_24:
	s_or_b64 exec, exec, s[4:5]
                                        ; implicit-def: $vgpr41
.LBB0_25:
	s_andn2_saveexec_b64 s[4:5], s[22:23]
	s_cbranch_execz .LBB0_27
; %bb.26:
	v_add_f32_e32 v2, 0xc1480000, v41
	v_mov_b32_e32 v3, 0x264fc70a
	v_fmac_f32_e32 v3, 0xa440066a, v2
	v_mov_b32_e32 v10, 0x287b7ada
	v_fmac_f32_e32 v10, v2, v3
	;; [unrolled: 2-line block ×10, first 2 shown]
	v_mov_b32_e32 v42, 0x3c1108c7
	v_mov_b32_e32 v3, 0x27e128b1
	v_fmac_f32_e32 v42, v2, v10
	v_fmac_f32_e32 v3, 0xa6038377, v2
	v_mov_b32_e32 v10, 0x2a43ab74
	v_fmac_f32_e32 v10, v2, v3
	v_mov_b32_e32 v3, 0x29c9db21
	v_fmac_f32_e32 v3, v2, v10
	v_mov_b32_e32 v10, 0xae1ba48c
	v_fmac_f32_e32 v10, v2, v3
	v_mov_b32_e32 v3, 0x2ed24191
	v_fmac_f32_e32 v3, v2, v10
	v_mov_b32_e32 v10, 0xb227e55f
	v_fmac_f32_e32 v10, v2, v3
	v_mov_b32_e32 v3, 0x34e3a6cb
	v_fmac_f32_e32 v3, v2, v10
	v_mov_b32_e32 v10, 0xb72bc5b9
	v_fmac_f32_e32 v10, v2, v3
	v_mov_b32_e32 v3, 0x39874286
	v_fmac_f32_e32 v3, v2, v10
	v_mov_b32_e32 v10, 0xbbb5c6a0
	v_fmac_f32_e32 v10, v2, v3
	v_mov_b32_e32 v43, 0x3db1d10d
	v_mov_b32_e32 v3, 0x28c0afef
	v_fmac_f32_e32 v43, v2, v10
	v_fmac_f32_e32 v3, 0xa7363801, v2
	v_mov_b32_e32 v10, 0x2b5dec6d
	v_fmac_f32_e32 v10, v2, v3
	v_mov_b32_e32 v3, 0xab7dfc70
	v_fmac_f32_e32 v3, v2, v10
	v_mov_b32_e32 v10, 0xae7fb4f7
	v_fmac_f32_e32 v10, v2, v3
	v_mov_b32_e32 v3, 0xb0b745ac
	v_fmac_f32_e32 v3, v2, v10
	v_mov_b32_e32 v10, 0xb2be71c6
	v_fmac_f32_e32 v10, v2, v3
	v_mov_b32_e32 v3, 0x35dc8f0b
	v_fmac_f32_e32 v3, v2, v10
	v_mov_b32_e32 v10, 0xb83861ec
	v_fmac_f32_e32 v10, v2, v3
	v_mov_b32_e32 v3, 0x3a8e688d
	v_fmac_f32_e32 v3, v2, v10
	v_mov_b32_e32 v10, 0xbcae8062
	v_fmac_f32_e32 v10, v2, v3
	;; [unrolled: 22-line block ×4, first 2 shown]
	v_mov_b32_e32 v3, 0xbf13a93a
	v_fmac_f32_e32 v3, v2, v10
	v_mov_b32_e32 v10, 0x4077e3dd
	v_fmac_f32_e32 v10, v2, v3
	;; [unrolled: 2-line block ×22, first 2 shown]
	v_mov_b32_e32 v46, 0x3d90094e
	v_mov_b32_e32 v3, 0xa7e0e884
	v_fmac_f32_e32 v46, v2, v14
	v_fmac_f32_e32 v3, 0x25cf89a3, v2
	v_mov_b32_e32 v14, 0x29dff2d1
	v_fmac_f32_e32 v14, v2, v3
	v_mov_b32_e32 v3, 0xabf62839
	;; [unrolled: 2-line block ×40, first 2 shown]
	v_fmac_f32_e32 v58, v2, v14
.LBB0_27:
	s_or_b64 exec, exec, s[4:5]
                                        ; implicit-def: $vgpr41
.LBB0_28:
	s_andn2_saveexec_b64 s[4:5], s[20:21]
	s_cbranch_execz .LBB0_30
; %bb.29:
	v_add_f32_e32 v2, 0xc0f00000, v41
	v_mov_b32_e32 v3, 0x2a55a02a
	v_fmac_f32_e32 v3, 0xa84d0c9c, v2
	v_mov_b32_e32 v10, 0xaca96f2d
	v_fmac_f32_e32 v10, v2, v3
	;; [unrolled: 2-line block ×8, first 2 shown]
	v_mov_b32_e32 v42, 0x3c4909af
	v_mov_b32_e32 v3, 0x28665c86
	v_fmac_f32_e32 v42, v2, v10
	v_fmac_f32_e32 v3, 0xa7844894, v2
	v_mov_b32_e32 v10, 0xabb6767e
	v_fmac_f32_e32 v10, v2, v3
	v_mov_b32_e32 v3, 0x2d81ef09
	;; [unrolled: 2-line block ×30, first 2 shown]
	v_mov_b32_e32 v3, 0xac24b72c
	v_fmac_f32_e32 v45, v2, v10
	v_fmac_f32_e32 v3, 0xaa067ae9, v2
	v_mov_b32_e32 v10, 0x2cf16c3f
	v_fmac_f32_e32 v10, v2, v3
	v_mov_b32_e32 v3, 0x302732ff
	;; [unrolled: 2-line block ×10, first 2 shown]
	v_mov_b32_e32 v3, 0xaa8bf20a
	v_fmac_f32_e32 v10, v2, v11
	v_fmac_f32_e32 v3, 0x280f4f2a, v2
	v_mov_b32_e32 v11, 0x2ca7857e
	v_fmac_f32_e32 v11, v2, v3
	v_mov_b32_e32 v3, 0xaed1b194
	;; [unrolled: 2-line block ×34, first 2 shown]
	v_mov_b32_e32 v3, 0x2555a2e1
	v_fmac_f32_e32 v56, v2, v14
	v_fmac_f32_e32 v3, 0xa348a2a3, v2
	v_mov_b32_e32 v14, 0xa744bb38
	v_fmac_f32_e32 v14, v2, v3
	v_mov_b32_e32 v3, 0x2939e153
	;; [unrolled: 2-line block ×14, first 2 shown]
	v_mov_b32_e32 v3, 0xa3696281
	v_fmac_f32_e32 v57, v2, v14
	v_fmac_f32_e32 v3, 0x21572974, v2
	v_mov_b32_e32 v14, 0x25597533
	v_fmac_f32_e32 v14, v2, v3
	v_mov_b32_e32 v3, 0xa74f4a45
	;; [unrolled: 2-line block ×15, first 2 shown]
	v_fmac_f32_e32 v58, v2, v3
.LBB0_30:
	s_or_b64 exec, exec, s[4:5]
                                        ; implicit-def: $vgpr41
.LBB0_31:
	s_andn2_saveexec_b64 s[4:5], s[18:19]
	s_cbranch_execz .LBB0_33
; %bb.32:
	v_add_f32_e32 v2, 0xc0400000, v41
	v_mov_b32_e32 v3, 0x2b652811
	v_fmac_f32_e32 v3, 0xa8e8888b, v2
	v_mov_b32_e32 v10, 0xadb9f664
	v_fmac_f32_e32 v10, v2, v3
	v_mov_b32_e32 v3, 0x300c2389
	v_fmac_f32_e32 v3, v2, v10
	v_mov_b32_e32 v10, 0xb2474a47
	v_fmac_f32_e32 v10, v2, v3
	v_mov_b32_e32 v3, 0x34848167
	v_fmac_f32_e32 v3, v2, v10
	v_mov_b32_e32 v10, 0xb6a5464f
	v_fmac_f32_e32 v10, v2, v3
	v_mov_b32_e32 v3, 0x38bd48ef
	v_fmac_f32_e32 v3, v2, v10
	v_mov_b32_e32 v10, 0xbabe4db0
	v_fmac_f32_e32 v10, v2, v3
	v_mov_b32_e32 v42, 0x3c8e1023
	v_mov_b32_e32 v3, 0x29754577
	v_fmac_f32_e32 v42, v2, v10
	v_fmac_f32_e32 v3, 0x283c4bc8, v2
	v_mov_b32_e32 v10, 0xaca9fa51
	v_fmac_f32_e32 v10, v2, v3
	v_mov_b32_e32 v3, 0x2ef9f35d
	;; [unrolled: 2-line block ×28, first 2 shown]
	v_mov_b32_e32 v3, 0x2c5ec5b6
	v_fmac_f32_e32 v45, v2, v10
	v_fmac_f32_e32 v3, 0x2b4880f0, v2
	v_mov_b32_e32 v10, 0xaec10040
	v_fmac_f32_e32 v10, v2, v3
	v_mov_b32_e32 v3, 0xb120ff49
	;; [unrolled: 2-line block ×44, first 2 shown]
	v_mov_b32_e32 v3, 0xaa350dc3
	v_fmac_f32_e32 v56, v2, v14
	v_fmac_f32_e32 v3, 0x283b7ae5, v2
	v_mov_b32_e32 v14, 0x2c19a711
	v_fmac_f32_e32 v14, v2, v3
	v_mov_b32_e32 v3, 0xae0146bc
	;; [unrolled: 2-line block ×28, first 2 shown]
	v_fmac_f32_e32 v58, v2, v14
.LBB0_33:
	s_or_b64 exec, exec, s[4:5]
                                        ; implicit-def: $vgpr41
.LBB0_34:
	s_andn2_saveexec_b64 s[4:5], s[16:17]
	s_cbranch_execz .LBB0_36
; %bb.35:
	v_mov_b32_e32 v2, 0x30a78266
	v_fmac_f32_e32 v2, 0xae44739a, v41
	v_mov_b32_e32 v3, 0xb2e1e4d2
	v_fmac_f32_e32 v3, v41, v2
	;; [unrolled: 2-line block ×6, first 2 shown]
	v_mov_b32_e32 v42, 0x3cb9ade5
	v_mov_b32_e32 v2, 0xb19d1daf
	v_fmac_f32_e32 v42, v41, v3
	v_fmac_f32_e32 v2, 0x2f5455b2, v41
	v_mov_b32_e32 v3, 0x32d55286
	v_fmac_f32_e32 v3, v41, v2
	v_mov_b32_e32 v2, 0x35ca49e0
	v_fmac_f32_e32 v2, v41, v3
	v_mov_b32_e32 v3, 0xb87eb4fd
	v_fmac_f32_e32 v3, v41, v2
	v_mov_b32_e32 v2, 0x3ab43bac
	v_fmac_f32_e32 v2, v41, v3
	v_mov_b32_e32 v3, 0xbcb46f9c
	v_fmac_f32_e32 v3, v41, v2
	v_mov_b32_e32 v43, 0x3e6cd27d
	v_mov_b32_e32 v2, 0x340d3d23
	v_fmac_f32_e32 v43, v41, v3
	v_fmac_f32_e32 v2, 0x31a6a427, v41
	v_mov_b32_e32 v3, 0xb639ac78
	v_fmac_f32_e32 v3, v41, v2
	v_mov_b32_e32 v2, 0xb8a074df
	;; [unrolled: 2-line block ×10, first 2 shown]
	v_mov_b32_e32 v2, 0x32984a3e
	v_fmac_f32_e32 v45, v41, v3
	v_fmac_f32_e32 v2, 0xb2195195, v41
	v_mov_b32_e32 v3, 0x364c0fc5
	v_fmac_f32_e32 v3, v41, v2
	v_mov_b32_e32 v2, 0x38dded41
	;; [unrolled: 2-line block ×12, first 2 shown]
	v_mov_b32_e32 v2, 0xb415394f
	v_fmac_f32_e32 v11, v41, v3
	v_fmac_f32_e32 v2, 0x32143c76, v41
	v_mov_b32_e32 v3, 0x35d72305
	v_fmac_f32_e32 v3, v41, v2
	v_mov_b32_e32 v2, 0xb78a1b67
	;; [unrolled: 2-line block ×16, first 2 shown]
	v_mov_b32_e32 v2, 0x35181824
	v_fmac_f32_e32 v56, v41, v3
	v_fmac_f32_e32 v2, 0xb32556fa, v41
	v_mov_b32_e32 v3, 0xb6b956a9
	v_fmac_f32_e32 v3, v41, v2
	v_mov_b32_e32 v2, 0x383e11ba
	;; [unrolled: 2-line block ×8, first 2 shown]
	v_mov_b32_e32 v2, 0xb38af695
	v_fmac_f32_e32 v57, v41, v3
	v_fmac_f32_e32 v2, 0x318cbc57, v41
	v_mov_b32_e32 v3, 0x35350544
	v_fmac_f32_e32 v3, v41, v2
	v_mov_b32_e32 v2, 0xb6c6932e
	v_fmac_f32_e32 v2, v41, v3
	v_mov_b32_e32 v3, 0x383e15a6
	v_fmac_f32_e32 v3, v41, v2
	v_mov_b32_e32 v2, 0xb99cd0e8
	v_fmac_f32_e32 v2, v41, v3
	v_mov_b32_e32 v3, 0x3ad92e46
	v_fmac_f32_e32 v3, v41, v2
	v_mov_b32_e32 v2, 0xbbf2b401
	v_fmac_f32_e32 v2, v41, v3
	v_mov_b32_e32 v3, 0x3ccd876f
	v_fmac_f32_e32 v3, v41, v2
	v_mov_b32_e32 v2, 0xbd6b057d
	v_fmac_f32_e32 v2, v41, v3
	v_mov_b32_e32 v58, 0x3d888afc
	v_fmac_f32_e32 v58, v41, v2
.LBB0_36:
	s_or_b64 exec, exec, s[4:5]
                                        ; implicit-def: $vgpr41
.LBB0_37:
	s_andn2_saveexec_b64 s[4:5], s[14:15]
	s_cbranch_execz .LBB0_39
; %bb.38:
	v_mov_b32_e32 v42, 0x3cb9ade5
	v_mov_b32_e32 v43, 0x3e6cd27d
	;; [unrolled: 1-line block ×10, first 2 shown]
	v_fmac_f32_e32 v42, 0xbb0d784d, v41
	v_fmac_f32_e32 v43, 0xbcb46f9c, v41
	;; [unrolled: 1-line block ×10, first 2 shown]
.LBB0_39:
	s_or_b64 exec, exec, s[4:5]
	buffer_store_dword v42, off, s[0:3], s32 offset:64
	buffer_store_dword v11, off, s[0:3], s32 offset:96
	;; [unrolled: 1-line block ×10, first 2 shown]
.LBB0_40:
	s_or_b64 exec, exec, s[12:13]
                                        ; implicit-def: $vgpr41
.LBB0_41:
	s_andn2_saveexec_b64 s[10:11], s[10:11]
	s_cbranch_execz .LBB0_81
; %bb.42:
	buffer_load_dword v2, off, s[0:3], s32 offset:324 ; 4-byte Folded Reload
	s_waitcnt vmcnt(0)
	v_cmp_eq_u32_e32 vcc, 3, v2
	s_and_saveexec_b64 s[12:13], vcc
	s_cbranch_execz .LBB0_80
; %bb.43:
	s_mov_b32 s4, 0x34a10fb0
	v_cmp_ge_f32_e32 vcc, s4, v41
                                        ; implicit-def: $vgpr46
                                        ; implicit-def: $vgpr47
                                        ; implicit-def: $vgpr56
                                        ; implicit-def: $vgpr11
                                        ; implicit-def: $vgpr45
                                        ; implicit-def: $vgpr44
                                        ; implicit-def: $vgpr43
                                        ; implicit-def: $vgpr42
	s_and_saveexec_b64 s[4:5], vcc
	s_xor_b64 s[4:5], exec, s[4:5]
	s_cbranch_execz .LBB0_45
; %bb.44:
	v_mov_b32_e32 v42, 0x3d0e9f4f
	v_mov_b32_e32 v43, 0x3ec35cc6
	;; [unrolled: 1-line block ×8, first 2 shown]
	v_fmac_f32_e32 v42, 0xbb863b96, v41
	v_fmac_f32_e32 v43, 0xbd37ded9, v41
	;; [unrolled: 1-line block ×8, first 2 shown]
                                        ; implicit-def: $vgpr41
.LBB0_45:
	s_andn2_saveexec_b64 s[14:15], s[4:5]
	s_cbranch_execz .LBB0_79
; %bb.46:
	v_cmp_ge_f32_e32 vcc, 1.0, v41
                                        ; implicit-def: $vgpr46
                                        ; implicit-def: $vgpr47
                                        ; implicit-def: $vgpr56
                                        ; implicit-def: $vgpr11
                                        ; implicit-def: $vgpr45
                                        ; implicit-def: $vgpr44
                                        ; implicit-def: $vgpr43
                                        ; implicit-def: $vgpr42
	s_and_saveexec_b64 s[4:5], vcc
	s_xor_b64 s[4:5], exec, s[4:5]
	s_cbranch_execz .LBB0_48
; %bb.47:
	v_mov_b32_e32 v2, 0x31b29714
	v_fmac_f32_e32 v2, 0xaf56bec5, v41
	v_mov_b32_e32 v3, 0xb3da8534
	v_fmac_f32_e32 v3, v41, v2
	v_mov_b32_e32 v2, 0x35e7587c
	v_fmac_f32_e32 v2, v41, v3
	v_mov_b32_e32 v3, 0xb7db1d08
	v_fmac_f32_e32 v3, v41, v2
	v_mov_b32_e32 v2, 0x39b9084c
	v_fmac_f32_e32 v2, v41, v3
	v_mov_b32_e32 v3, 0xbb863b96
	v_fmac_f32_e32 v3, v41, v2
	v_mov_b32_e32 v42, 0x3d0e9f4f
	v_mov_b32_e32 v2, 0x34a521e7
	v_fmac_f32_e32 v42, v41, v3
	v_fmac_f32_e32 v2, 0xb2a2d38f, v41
	v_mov_b32_e32 v3, 0x35aa969a
	v_fmac_f32_e32 v3, v41, v2
	v_mov_b32_e32 v2, 0xb9149d52
	v_fmac_f32_e32 v2, v41, v3
	v_mov_b32_e32 v3, 0x3b537bba
	v_fmac_f32_e32 v3, v41, v2
	v_mov_b32_e32 v2, 0xbd37ded9
	v_fmac_f32_e32 v2, v41, v3
	v_mov_b32_e32 v43, 0x3ec35cc6
	v_fmac_f32_e32 v43, v41, v2
	v_mov_b32_e32 v2, 0x3310894f
	v_fmac_f32_e32 v2, 0x30f3a70b, v41
	v_mov_b32_e32 v3, 0xb48ab230
	v_fmac_f32_e32 v3, v41, v2
	v_mov_b32_e32 v2, 0xb73eaa1c
	v_fmac_f32_e32 v2, v41, v3
	v_mov_b32_e32 v3, 0xb8a5ffff
	v_fmac_f32_e32 v3, v41, v2
	v_mov_b32_e32 v2, 0x3c2a1bb5
	v_fmac_f32_e32 v2, v41, v3
	v_mov_b32_e32 v3, 0xbe514b60
	v_fmac_f32_e32 v3, v41, v2
	v_mov_b32_e32 v44, 0x3fde6016
	v_mov_b32_e32 v2, 0xb485f05f
	v_fmac_f32_e32 v44, v41, v3
	v_fmac_f32_e32 v2, 0xb371075f, v41
	v_mov_b32_e32 v3, 0x3666185c
	v_fmac_f32_e32 v3, v41, v2
	v_mov_b32_e32 v2, 0x39300e83
	v_fmac_f32_e32 v2, v41, v3
	v_mov_b32_e32 v3, 0x3d4172bb
	v_fmac_f32_e32 v3, v41, v2
	v_mov_b32_e32 v2, 0xbfb26435
	v_fmac_f32_e32 v2, v41, v3
	v_mov_b32_e32 v45, 0x413d8a78
	v_fmac_f32_e32 v45, v41, v2
	;; [unrolled: 26-line block ×3, first 2 shown]
	v_mov_b32_e32 v2, 0x3c9d30f7
	v_fmac_f32_e32 v2, v41, v3
	v_mov_b32_e32 v3, 0xbdb7eb7d
	v_fmac_f32_e32 v3, v41, v2
	v_mov_b32_e32 v56, 0x3ea09e28
	v_mov_b32_e32 v2, 0x35082932
	v_fmac_f32_e32 v56, v41, v3
	v_fmac_f32_e32 v2, 0xb312c10a, v41
	v_mov_b32_e32 v3, 0xb6a8559c
	v_fmac_f32_e32 v3, v41, v2
	v_mov_b32_e32 v2, 0x3830502e
	;; [unrolled: 2-line block ×8, first 2 shown]
	v_mov_b32_e32 v2, 0xb3aaa2d3
	v_fmac_f32_e32 v47, v41, v3
	v_fmac_f32_e32 v2, 0x31abae9b, v41
	v_mov_b32_e32 v3, 0x3560631c
	v_fmac_f32_e32 v3, v41, v2
	v_mov_b32_e32 v2, 0xb6f90dab
	;; [unrolled: 2-line block ×9, first 2 shown]
	v_fmac_f32_e32 v46, v41, v2
                                        ; implicit-def: $vgpr41
.LBB0_48:
	s_andn2_saveexec_b64 s[16:17], s[4:5]
	s_cbranch_execz .LBB0_78
; %bb.49:
	s_mov_b32 s4, 0x40a00000
	v_cmp_ge_f32_e32 vcc, s4, v41
                                        ; implicit-def: $vgpr46
                                        ; implicit-def: $vgpr47
                                        ; implicit-def: $vgpr56
                                        ; implicit-def: $vgpr11
                                        ; implicit-def: $vgpr45
                                        ; implicit-def: $vgpr44
                                        ; implicit-def: $vgpr43
                                        ; implicit-def: $vgpr42
	s_and_saveexec_b64 s[4:5], vcc
	s_xor_b64 s[4:5], exec, s[4:5]
	s_cbranch_execz .LBB0_51
; %bb.50:
	v_add_f32_e32 v2, 0xc0400000, v41
	v_mov_b32_e32 v3, 0xaa160d59
	v_fmac_f32_e32 v3, 0xa6d61ce4, v2
	v_mov_b32_e32 v10, 0x2c8f262f
	v_fmac_f32_e32 v10, v2, v3
	;; [unrolled: 2-line block ×50, first 2 shown]
	v_mov_b32_e32 v11, 0x3e946d99
	v_mov_b32_e32 v3, 0x2a7e0d84
	v_fmac_f32_e32 v11, v2, v10
	v_fmac_f32_e32 v3, 0xa883d0e0, v2
	v_mov_b32_e32 v10, 0xac5b4987
	v_fmac_f32_e32 v10, v2, v3
	v_mov_b32_e32 v3, 0x2e3e145e
	;; [unrolled: 2-line block ×12, first 2 shown]
	v_mov_b32_e32 v3, 0xaa1e3c47
	v_fmac_f32_e32 v56, v2, v10
	v_fmac_f32_e32 v3, 0x28235b54, v2
	v_mov_b32_e32 v10, 0x2c070e7f
	v_fmac_f32_e32 v10, v2, v3
	v_mov_b32_e32 v3, 0xade52671
	;; [unrolled: 2-line block ×28, first 2 shown]
	v_fmac_f32_e32 v46, v2, v10
                                        ; implicit-def: $vgpr41
.LBB0_51:
	s_andn2_saveexec_b64 s[18:19], s[4:5]
	s_cbranch_execz .LBB0_77
; %bb.52:
	s_mov_b32 s4, 0x41200000
	v_cmp_ge_f32_e32 vcc, s4, v41
                                        ; implicit-def: $vgpr46
                                        ; implicit-def: $vgpr47
                                        ; implicit-def: $vgpr56
                                        ; implicit-def: $vgpr11
                                        ; implicit-def: $vgpr45
                                        ; implicit-def: $vgpr44
                                        ; implicit-def: $vgpr43
                                        ; implicit-def: $vgpr42
	s_and_saveexec_b64 s[4:5], vcc
	s_xor_b64 s[4:5], exec, s[4:5]
	s_cbranch_execz .LBB0_54
; %bb.53:
	v_add_f32_e32 v2, 0xc0f00000, v41
	v_mov_b32_e32 v3, 0xa7e238da
	v_fmac_f32_e32 v3, 0x27a7407e, v2
	v_mov_b32_e32 v10, 0x2ac2e816
	v_fmac_f32_e32 v10, v2, v3
	;; [unrolled: 2-line block ×30, first 2 shown]
	v_mov_b32_e32 v44, 0x3f385f6e
	v_mov_b32_e32 v3, 0x2b58703b
	v_fmac_f32_e32 v44, v2, v10
	v_fmac_f32_e32 v3, 0xa8921ba1, v2
	v_mov_b32_e32 v10, 0x2ccacda3
	v_fmac_f32_e32 v10, v2, v3
	v_mov_b32_e32 v3, 0xaf17cd6e
	;; [unrolled: 2-line block ×22, first 2 shown]
	v_mov_b32_e32 v3, 0x27e16f6a
	v_fmac_f32_e32 v11, v2, v10
	v_fmac_f32_e32 v3, 0xa5cdf0a4, v2
	v_mov_b32_e32 v10, 0xa9d97501
	v_fmac_f32_e32 v10, v2, v3
	v_mov_b32_e32 v3, 0x2bd4368f
	;; [unrolled: 2-line block ×12, first 2 shown]
	v_mov_b32_e32 v3, 0xa7417bc5
	v_fmac_f32_e32 v56, v2, v10
	v_fmac_f32_e32 v3, 0x253def64, v2
	v_mov_b32_e32 v10, 0x292aa2ef
	v_fmac_f32_e32 v10, v2, v3
	v_mov_b32_e32 v3, 0xab1b0ff1
	;; [unrolled: 2-line block ×28, first 2 shown]
	v_fmac_f32_e32 v46, v2, v10
                                        ; implicit-def: $vgpr41
.LBB0_54:
	s_andn2_saveexec_b64 s[20:21], s[4:5]
	s_cbranch_execz .LBB0_76
; %bb.55:
	s_mov_b32 s4, 0x41700000
	v_cmp_ge_f32_e32 vcc, s4, v41
                                        ; implicit-def: $vgpr46
                                        ; implicit-def: $vgpr47
                                        ; implicit-def: $vgpr56
                                        ; implicit-def: $vgpr11
                                        ; implicit-def: $vgpr45
                                        ; implicit-def: $vgpr44
                                        ; implicit-def: $vgpr43
                                        ; implicit-def: $vgpr42
	s_and_saveexec_b64 s[4:5], vcc
	s_xor_b64 s[6:7], exec, s[4:5]
	s_cbranch_execz .LBB0_57
; %bb.56:
	v_add_f32_e32 v2, 0xc1480000, v41
	v_mov_b32_e32 v3, 0x26679cea
	v_fmac_f32_e32 v3, 0x246437e5, v2
	v_mov_b32_e32 v10, 0xa7c9bad2
	v_fmac_f32_e32 v10, v2, v3
	;; [unrolled: 2-line block ×34, first 2 shown]
	v_mov_b32_e32 v44, 0x3eddef6a
	v_mov_b32_e32 v3, 0xa954e934
	v_fmac_f32_e32 v44, v2, v10
	v_fmac_f32_e32 v3, 0x2950b415, v2
	v_mov_b32_e32 v10, 0xad3042c6
	v_fmac_f32_e32 v10, v2, v3
	v_mov_b32_e32 v3, 0x2e859230
	;; [unrolled: 2-line block ×38, first 2 shown]
	v_mov_b32_e32 v3, 0x29ea7905
	v_fmac_f32_e32 v47, v2, v10
	v_fmac_f32_e32 v3, 0xa7e03286, v2
	v_mov_b32_e32 v10, 0xab4098d2
	v_fmac_f32_e32 v10, v2, v3
	v_mov_b32_e32 v3, 0x2d8ab352
	;; [unrolled: 2-line block ×10, first 2 shown]
	s_mov_b32 s22, 0xbe405aee
	v_fmac_f32_e32 v56, v2, v10
	v_div_scale_f32 v2, s[4:5], v41, v41, s22
	v_rcp_f32_e32 v3, v2
	v_fma_f32 v10, -v2, v3, 1.0
	v_fmac_f32_e32 v3, v10, v3
	v_div_scale_f32 v10, vcc, s22, v41, s22
	v_mul_f32_e32 v11, v10, v3
	v_fma_f32 v14, -v2, v11, v10
	v_fmac_f32_e32 v11, v14, v3
	v_fma_f32 v2, -v2, v11, v10
	v_div_fmas_f32 v2, v2, v3, v11
	v_div_fixup_f32 v2, v2, v41, s22
	v_add_f32_e32 v2, 0x3e6b6fc1, v2
	v_div_scale_f32 v3, s[4:5], v41, v41, v2
	s_mov_b32 s22, 0x3f490fdb
	v_rcp_f32_e32 v10, v3
	v_fma_f32 v11, -v3, v10, 1.0
	v_fmac_f32_e32 v10, v11, v10
	v_div_scale_f32 v11, vcc, v2, v41, v2
	v_mul_f32_e32 v14, v11, v10
	v_fma_f32 v15, -v3, v14, v11
	v_fmac_f32_e32 v14, v15, v10
	v_fma_f32 v3, -v3, v14, v11
	v_div_fmas_f32 v3, v3, v10, v14
	v_div_fixup_f32 v2, v3, v41, v2
	v_add_f32_e32 v2, 0xbeff74bd, v2
	v_div_scale_f32 v3, s[4:5], v41, v41, v2
	s_mov_b32 s4, 0xbfb8aa3b
	v_rcp_f32_e32 v10, v3
	v_fma_f32 v11, -v3, v10, 1.0
	v_fmac_f32_e32 v10, v11, v10
	v_div_scale_f32 v11, vcc, v2, v41, v2
	v_mul_f32_e32 v14, v11, v10
	v_fma_f32 v15, -v3, v14, v11
	v_fmac_f32_e32 v14, v15, v10
	v_fma_f32 v3, -v3, v14, v11
	v_div_fmas_f32 v3, v3, v10, v14
	v_div_fixup_f32 v2, v3, v41, v2
	v_mul_f32_e32 v3, 0xbfb8aa3b, v41
	v_rndne_f32_e32 v10, v3
	v_sub_f32_e32 v11, v3, v10
	v_fma_f32 v3, v41, s4, -v3
	v_fmac_f32_e32 v3, 0xb2a5705f, v41
	v_add_f32_e32 v3, v11, v3
	v_exp_f32_e32 v3, v3
	v_cvt_i32_f32_e32 v10, v10
	s_mov_b32 s4, 0x42ce8ed0
	v_cmp_nlt_f32_e32 vcc, s4, v41
	s_mov_b32 s4, 0xc2b17218
	v_ldexp_f32 v3, v3, v10
	v_cndmask_b32_e32 v3, 0, v3, vcc
	v_cmp_ngt_f32_e32 vcc, s4, v41
	v_mov_b32_e32 v10, 0x7f800000
	v_cndmask_b32_e32 v3, v10, v3, vcc
	v_div_scale_f32 v10, s[4:5], v41, v41, s22
	s_mov_b32 s4, 0xf800000
	v_add_f32_e32 v2, 0xb7b7d95a, v2
	v_rcp_f32_e32 v11, v10
	v_fma_f32 v14, -v10, v11, 1.0
	v_fmac_f32_e32 v11, v14, v11
	v_div_scale_f32 v14, vcc, s22, v41, s22
	v_mul_f32_e32 v15, v14, v11
	v_fma_f32 v18, -v10, v15, v14
	v_fmac_f32_e32 v15, v18, v11
	v_fma_f32 v10, -v10, v15, v14
	v_div_fmas_f32 v10, v10, v11, v15
	v_div_fixup_f32 v10, v10, v41, s22
	v_cmp_gt_f32_e32 vcc, s4, v10
	v_mul_f32_e32 v11, 0x4f800000, v10
	v_cndmask_b32_e32 v10, v10, v11, vcc
	v_sqrt_f32_e32 v11, v10
                                        ; implicit-def: $vgpr41
	v_add_u32_e32 v14, -1, v11
	v_fma_f32 v15, -v14, v11, v10
	v_cmp_ge_f32_e64 s[4:5], 0, v15
	v_add_u32_e32 v15, 1, v11
	v_cndmask_b32_e64 v14, v11, v14, s[4:5]
	v_fma_f32 v11, -v15, v11, v10
	v_cmp_lt_f32_e64 s[4:5], 0, v11
	v_cndmask_b32_e64 v11, v14, v15, s[4:5]
	v_mul_f32_e32 v14, 0x37800000, v11
	v_cndmask_b32_e32 v11, v11, v14, vcc
	v_mov_b32_e32 v14, 0x260
	v_cmp_class_f32_e32 vcc, v10, v14
	v_cndmask_b32_e32 v10, v11, v10, vcc
	v_fmac_f32_e32 v10, v3, v2
	v_sub_f32_e32 v2, v10, v46
	v_sub_f32_e32 v2, v2, v47
	;; [unrolled: 1-line block ×3, first 2 shown]
.LBB0_57:
	s_andn2_saveexec_b64 s[22:23], s[6:7]
	s_cbranch_execz .LBB0_75
; %bb.58:
	s_mov_b32 s4, 0x41a00000
	v_cmp_ge_f32_e32 vcc, s4, v41
                                        ; implicit-def: $vgpr46
                                        ; implicit-def: $vgpr47
                                        ; implicit-def: $vgpr56
                                        ; implicit-def: $vgpr11
                                        ; implicit-def: $vgpr45
                                        ; implicit-def: $vgpr44
                                        ; implicit-def: $vgpr43
                                        ; implicit-def: $vgpr42
	s_and_saveexec_b64 s[4:5], vcc
	s_xor_b64 s[6:7], exec, s[4:5]
	s_cbranch_execz .LBB0_60
; %bb.59:
	s_mov_b32 s24, 0x3f490fdb
	v_div_scale_f32 v2, s[4:5], v41, v41, s24
	s_mov_b32 s4, 0xf800000
	v_mov_b32_e32 v42, 0x3c08cd82
	v_mov_b32_e32 v43, 0x3da92b45
	;; [unrolled: 1-line block ×7, first 2 shown]
	v_rcp_f32_e32 v3, v2
	v_fma_f32 v10, -v2, v3, 1.0
	v_fmac_f32_e32 v3, v10, v3
	v_div_scale_f32 v10, vcc, s24, v41, s24
	v_mul_f32_e32 v11, v10, v3
	v_fma_f32 v14, -v2, v11, v10
	v_fmac_f32_e32 v11, v14, v3
	v_fma_f32 v2, -v2, v11, v10
	v_div_fmas_f32 v2, v2, v3, v11
	v_div_fixup_f32 v2, v2, v41, s24
	v_cmp_gt_f32_e32 vcc, s4, v2
	v_mul_f32_e32 v3, 0x4f800000, v2
	v_cndmask_b32_e32 v2, v2, v3, vcc
	v_sqrt_f32_e32 v3, v2
	s_mov_b32 s24, 0x3e48f136
	v_add_u32_e32 v10, -1, v3
	v_fma_f32 v11, -v10, v3, v2
	v_cmp_ge_f32_e64 s[4:5], 0, v11
	v_add_u32_e32 v11, 1, v3
	v_cndmask_b32_e64 v10, v3, v10, s[4:5]
	v_fma_f32 v3, -v11, v3, v2
	v_cmp_lt_f32_e64 s[4:5], 0, v3
	v_cndmask_b32_e64 v3, v10, v11, s[4:5]
	v_mul_f32_e32 v10, 0x37800000, v3
	v_cndmask_b32_e32 v3, v3, v10, vcc
	v_mov_b32_e32 v10, 0x260
	v_cmp_class_f32_e32 vcc, v2, v10
	v_cndmask_b32_e32 v10, v3, v2, vcc
	v_add_f32_e32 v2, 0xc18c0000, v41
	v_mov_b32_e32 v3, 0xa5021e92
	v_fmac_f32_e32 v3, 0x244964a5, v2
	v_mov_b32_e32 v11, 0xa7dd9259
	v_fmac_f32_e32 v11, v2, v3
	v_mov_b32_e32 v3, 0x29830f5a
	v_fmac_f32_e32 v3, v2, v11
	v_mov_b32_e32 v11, 0x2af781ba
	v_fmac_f32_e32 v11, v2, v3
	v_mov_b32_e32 v3, 0xad5ab96b
	v_fmac_f32_e32 v3, v2, v11
	v_mov_b32_e32 v11, 0x2e9392a4
	v_fmac_f32_e32 v11, v2, v3
	v_mov_b32_e32 v3, 0x2f8610fa
	v_fmac_f32_e32 v3, v2, v11
	v_mov_b32_e32 v11, 0x328feebe
	v_fmac_f32_e32 v11, v2, v3
	v_mov_b32_e32 v3, 0xb57a6150
	v_fmac_f32_e32 v3, v2, v11
	v_mov_b32_e32 v11, 0x37c88368
	v_fmac_f32_e32 v11, v2, v3
	v_mov_b32_e32 v3, 0xb9f5b4e6
	v_fmac_f32_e32 v3, v2, v11
	v_fmac_f32_e32 v42, v2, v3
	v_mov_b32_e32 v3, 0xa5964d55
	v_fmac_f32_e32 v3, 0x260fcd4b, v2
	v_mov_b32_e32 v11, 0xa9af14ba
	v_fmac_f32_e32 v11, v2, v3
	v_mov_b32_e32 v3, 0x2b224d2b
	v_fmac_f32_e32 v3, v2, v11
	v_mov_b32_e32 v11, 0x2ce25495
	v_fmac_f32_e32 v11, v2, v3
	v_mov_b32_e32 v3, 0xaf1975f0
	v_fmac_f32_e32 v3, v2, v11
	v_mov_b32_e32 v11, 0x3023ad2c
	v_fmac_f32_e32 v11, v2, v3
	v_mov_b32_e32 v3, 0x3126a007
	v_fmac_f32_e32 v3, v2, v11
	v_mov_b32_e32 v11, 0x3484de2d
	v_fmac_f32_e32 v11, v2, v3
	v_mov_b32_e32 v3, 0xb74073be
	v_fmac_f32_e32 v3, v2, v11
	v_mov_b32_e32 v11, 0x398e36e3
	v_fmac_f32_e32 v11, v2, v3
	v_mov_b32_e32 v3, 0xbba2cbac
	v_fmac_f32_e32 v3, v2, v11
	v_fmac_f32_e32 v43, v2, v3
	;; [unrolled: 23-line block ×4, first 2 shown]
	v_mov_b32_e32 v3, 0x230b0101
	v_fmac_f32_e32 v3, 0xa15f6467, v2
	v_mov_b32_e32 v11, 0xa5056e00
	v_fmac_f32_e32 v11, v2, v3
	;; [unrolled: 2-line block ×13, first 2 shown]
	v_fmac_f32_e32 v3, 0xa47fb206, v2
	v_mov_b32_e32 v11, 0x28730492
	v_fmac_f32_e32 v11, v2, v3
	v_mov_b32_e32 v3, 0xaa8d2834
	;; [unrolled: 2-line block ×10, first 2 shown]
	v_fmac_f32_e32 v3, v2, v11
	v_fmac_f32_e32 v47, v2, v3
	v_mov_b32_e32 v3, 0x26a8205b
	v_fmac_f32_e32 v3, 0xa55706df, v2
	v_mov_b32_e32 v11, 0x28e6eb32
	;; [unrolled: 2-line block ×11, first 2 shown]
	v_fmac_f32_e32 v3, v2, v11
	v_fmac_f32_e32 v56, v2, v3
	v_div_scale_f32 v2, s[4:5], v41, v41, s24
	v_rcp_f32_e32 v3, v2
	v_fma_f32 v11, -v2, v3, 1.0
	v_fmac_f32_e32 v3, v11, v3
	v_div_scale_f32 v11, vcc, s24, v41, s24
	v_mul_f32_e32 v14, v11, v3
	v_fma_f32 v15, -v2, v14, v11
	v_fmac_f32_e32 v14, v15, v3
	v_fma_f32 v2, -v2, v14, v11
	v_div_fmas_f32 v2, v2, v3, v14
	v_div_fixup_f32 v2, v2, v41, s24
	v_add_f32_e32 v2, 0xbefe708c, v2
	v_div_scale_f32 v3, s[4:5], v41, v41, v2
	s_mov_b32 s4, 0xbfb8aa3b
	v_rcp_f32_e32 v11, v3
	v_fma_f32 v14, -v3, v11, 1.0
	v_fmac_f32_e32 v11, v14, v11
	v_div_scale_f32 v14, vcc, v2, v41, v2
	v_mul_f32_e32 v15, v14, v11
	v_fma_f32 v18, -v3, v15, v14
	v_fmac_f32_e32 v15, v18, v11
	v_fma_f32 v3, -v3, v15, v14
	v_div_fmas_f32 v3, v3, v11, v15
	v_div_fixup_f32 v2, v3, v41, v2
	v_mul_f32_e32 v3, 0xbfb8aa3b, v41
	v_rndne_f32_e32 v11, v3
	v_sub_f32_e32 v14, v3, v11
	v_fma_f32 v3, v41, s4, -v3
	v_fmac_f32_e32 v3, 0xb2a5705f, v41
	v_add_f32_e32 v3, v14, v3
	v_exp_f32_e32 v3, v3
	v_cvt_i32_f32_e32 v11, v11
	s_mov_b32 s4, 0x42ce8ed0
	v_cmp_nlt_f32_e32 vcc, s4, v41
	s_mov_b32 s4, 0xc2b17218
	v_ldexp_f32 v3, v3, v11
	v_cndmask_b32_e32 v3, 0, v3, vcc
	v_cmp_ngt_f32_e32 vcc, s4, v41
	v_mov_b32_e32 v11, 0x7f800000
	v_add_f32_e32 v2, 0xb87c50a3, v2
	v_cndmask_b32_e32 v3, v11, v3, vcc
	v_fmac_f32_e32 v10, v3, v2
	v_sub_f32_e32 v2, v10, v56
	v_sub_f32_e32 v2, v2, v47
	;; [unrolled: 1-line block ×3, first 2 shown]
                                        ; implicit-def: $vgpr41
.LBB0_60:
	s_andn2_saveexec_b64 s[24:25], s[6:7]
	s_cbranch_execz .LBB0_74
; %bb.61:
	s_mov_b32 s4, 0x420c0000
	v_cmp_ge_f32_e32 vcc, s4, v41
                                        ; implicit-def: $vgpr46
                                        ; implicit-def: $vgpr47
                                        ; implicit-def: $vgpr56
                                        ; implicit-def: $vgpr11
                                        ; implicit-def: $vgpr45
                                        ; implicit-def: $vgpr44
                                        ; implicit-def: $vgpr43
                                        ; implicit-def: $vgpr42
	s_and_saveexec_b64 s[4:5], vcc
	s_xor_b64 s[6:7], exec, s[4:5]
	s_cbranch_execz .LBB0_67
; %bb.62:
	s_mov_b32 s4, 0x41c80000
	v_cmp_ge_f32_e32 vcc, s4, v41
                                        ; implicit-def: $vgpr10
	s_and_saveexec_b64 s[4:5], vcc
	s_xor_b64 s[4:5], exec, s[4:5]
	s_cbranch_execz .LBB0_64
; %bb.63:
	s_mov_b32 s28, 0x4681b030
	v_div_scale_f32 v2, s[26:27], v41, v41, s28
	v_div_scale_f32 v3, vcc, s28, v41, s28
	v_rcp_f32_e32 v10, v2
	v_fma_f32 v11, -v2, v10, 1.0
	v_fmac_f32_e32 v10, v11, v10
	v_mul_f32_e32 v11, v3, v10
	v_fma_f32 v14, -v2, v11, v3
	v_fmac_f32_e32 v11, v14, v10
	v_fma_f32 v2, -v2, v11, v3
	v_div_fmas_f32 v2, v2, v10, v11
	v_mov_b32_e32 v3, 0xb82007dc
	v_fmac_f32_e32 v3, 0x347b012a, v41
	v_mov_b32_e32 v10, 0x3b664dec
	v_fmac_f32_e32 v10, v41, v3
	;; [unrolled: 2-line block ×6, first 2 shown]
	v_div_fixup_f32 v2, v2, v41, s28
	v_fmac_f32_e32 v2, v41, v10
	v_add_f32_e32 v10, 0xc5c00653, v2
.LBB0_64:
	s_andn2_saveexec_b64 s[4:5], s[4:5]
	s_cbranch_execz .LBB0_66
; %bb.65:
	v_mov_b32_e32 v2, 0xb89f1e53
	v_fmac_f32_e32 v2, 0x36c0af5a, v41
	v_mov_b32_e32 v3, 0x39767de4
	v_fmac_f32_e32 v3, v41, v2
	;; [unrolled: 2-line block ×6, first 2 shown]
.LBB0_66:
	s_or_b64 exec, exec, s[4:5]
	s_mov_b32 s26, 0x3f490fdb
	v_div_scale_f32 v2, s[4:5], v41, v41, s26
	s_mov_b32 s4, 0xf800000
	v_rcp_f32_e32 v3, v2
	v_fma_f32 v11, -v2, v3, 1.0
	v_fmac_f32_e32 v3, v11, v3
	v_div_scale_f32 v11, vcc, s26, v41, s26
	v_mul_f32_e32 v14, v11, v3
	v_fma_f32 v15, -v2, v14, v11
	v_fmac_f32_e32 v14, v15, v3
	v_fma_f32 v2, -v2, v14, v11
	v_div_fmas_f32 v2, v2, v3, v14
	v_div_fixup_f32 v2, v2, v41, s26
	v_cmp_gt_f32_e32 vcc, s4, v2
	v_mul_f32_e32 v3, 0x4f800000, v2
	v_cndmask_b32_e32 v2, v2, v3, vcc
	v_sqrt_f32_e32 v3, v2
	s_mov_b32 s26, 0xca194e71
	v_add_u32_e32 v11, -1, v3
	v_fma_f32 v14, -v11, v3, v2
	v_cmp_ge_f32_e64 s[4:5], 0, v14
	v_add_u32_e32 v14, 1, v3
	v_cndmask_b32_e64 v11, v3, v11, s[4:5]
	v_fma_f32 v3, -v14, v3, v2
	v_cmp_lt_f32_e64 s[4:5], 0, v3
	v_cndmask_b32_e64 v3, v11, v14, s[4:5]
	v_mul_f32_e32 v11, 0x37800000, v3
	v_cndmask_b32_e32 v3, v3, v11, vcc
	v_mov_b32_e32 v11, 0x260
	v_cmp_class_f32_e32 vcc, v2, v11
	v_cndmask_b32_e32 v57, v3, v2, vcc
	v_mul_f32_e32 v2, 0xbfb8aa3b, v41
	s_mov_b32 s4, 0xbfb8aa3b
	v_rndne_f32_e32 v3, v2
	v_sub_f32_e32 v11, v2, v3
	v_fma_f32 v2, v41, s4, -v2
	v_fmac_f32_e32 v2, 0xb2a5705f, v41
	v_add_f32_e32 v2, v11, v2
	v_exp_f32_e32 v2, v2
	v_cvt_i32_f32_e32 v3, v3
	s_mov_b32 s4, 0x42ce8ed0
	v_cmp_nlt_f32_e32 vcc, s4, v41
	s_mov_b32 s4, 0xc2b17218
	v_ldexp_f32 v2, v2, v3
	v_cndmask_b32_e32 v2, 0, v2, vcc
	v_cmp_ngt_f32_e32 vcc, s4, v41
	v_mov_b32_e32 v3, 0x7f800000
	v_cndmask_b32_e32 v58, v3, v2, vcc
	v_mov_b32_e32 v2, 0x3aa6cffa
	v_fmac_f32_e32 v2, 0xb83af1e6, v41
	v_mov_b32_e32 v3, 0xbe72a452
	v_fmac_f32_e32 v3, v41, v2
	v_mov_b32_e32 v2, 0x4176edd6
	v_fmac_f32_e32 v2, v41, v3
	v_mov_b32_e32 v3, 0xc402b325
	v_fmac_f32_e32 v3, v41, v2
	v_mov_b32_e32 v2, 0x46258c7d
	v_fmac_f32_e32 v2, v41, v3
	v_div_scale_f32 v3, s[4:5], v41, v41, s26
	v_mul_f32_e32 v46, v58, v10
	v_fmac_f32_e32 v46, 0x396c2b78, v57
	v_rcp_f32_e32 v11, v3
	v_fma_f32 v14, -v3, v11, 1.0
	v_fmac_f32_e32 v11, v14, v11
	v_div_scale_f32 v14, vcc, s26, v41, s26
	v_mul_f32_e32 v15, v14, v11
	v_fma_f32 v18, -v3, v15, v14
	v_fmac_f32_e32 v15, v18, v11
	v_fma_f32 v3, -v3, v15, v14
	v_div_fmas_f32 v3, v3, v11, v15
	v_div_fixup_f32 v3, v3, v41, s26
	v_add_f32_e32 v3, 0x495520f6, v3
	v_div_scale_f32 v11, s[4:5], v41, v41, v3
	s_mov_b32 s26, 0x3e14ca72
	v_rcp_f32_e32 v14, v11
	v_fma_f32 v15, -v11, v14, 1.0
	v_fmac_f32_e32 v14, v15, v14
	v_div_scale_f32 v15, vcc, v3, v41, v3
	v_mul_f32_e32 v18, v15, v14
	v_fma_f32 v19, -v11, v18, v15
	v_fmac_f32_e32 v18, v19, v14
	v_fma_f32 v11, -v11, v18, v15
	v_div_fmas_f32 v11, v11, v14, v18
	v_div_fixup_f32 v3, v11, v41, v3
	v_fmac_f32_e32 v3, v41, v2
	v_add_f32_e32 v2, 0xc7fc5531, v3
	v_add_f32_e32 v3, 0xbe14ca72, v41
	v_div_scale_f32 v11, s[4:5], v3, v3, s26
	v_rcp_f32_e32 v14, v11
	v_fma_f32 v15, -v11, v14, 1.0
	v_fmac_f32_e32 v14, v15, v14
	v_div_scale_f32 v15, vcc, s26, v3, s26
	v_mul_f32_e32 v18, v15, v14
	v_fma_f32 v19, -v11, v18, v15
	v_fmac_f32_e32 v18, v19, v14
	v_fma_f32 v11, -v11, v18, v15
	v_div_fmas_f32 v11, v11, v14, v18
	v_div_fixup_f32 v42, v11, v3, s26
	v_fmac_f32_e32 v42, v58, v2
	v_mov_b32_e32 v2, 0x40cb68be
	v_fmac_f32_e32 v2, 0xbda0e4fa, v41
	v_mov_b32_e32 v3, 0xc3a92602
	;; [unrolled: 2-line block ×3, first 2 shown]
	s_mov_b32 s26, 0xce7434c4
	v_fmac_f32_e32 v11, v41, v3
	v_div_scale_f32 v3, s[4:5], v41, v41, s26
	v_mov_b32_e32 v2, 0xc89ab5f2
	v_fmac_f32_e32 v2, v41, v11
	v_rcp_f32_e32 v11, v3
	v_fma_f32 v14, -v3, v11, 1.0
	v_fmac_f32_e32 v11, v14, v11
	v_div_scale_f32 v14, vcc, s26, v41, s26
	v_mul_f32_e32 v15, v14, v11
	v_fma_f32 v18, -v3, v15, v14
	v_fmac_f32_e32 v15, v18, v11
	v_fma_f32 v3, -v3, v15, v14
	v_div_fmas_f32 v3, v3, v11, v15
	v_div_fixup_f32 v3, v3, v41, s26
	v_add_f32_e32 v3, 0x4db07acc, v3
	v_div_scale_f32 v11, s[4:5], v41, v41, v3
	s_mov_b32 s26, 0x3fab678a
	v_rcp_f32_e32 v14, v11
	v_fma_f32 v15, -v11, v14, 1.0
	v_fmac_f32_e32 v14, v15, v14
	v_div_scale_f32 v15, vcc, v3, v41, v3
	v_mul_f32_e32 v18, v15, v14
	v_fma_f32 v19, -v11, v18, v15
	v_fmac_f32_e32 v18, v19, v14
	v_fma_f32 v11, -v11, v18, v15
	v_div_fmas_f32 v11, v11, v14, v18
	v_div_fixup_f32 v3, v11, v41, v3
	v_add_f32_e32 v3, 0xcc5ff7d7, v3
	v_div_scale_f32 v11, s[4:5], v41, v41, v3
	v_rcp_f32_e32 v14, v11
	v_fma_f32 v15, -v11, v14, 1.0
	v_fmac_f32_e32 v14, v15, v14
	v_div_scale_f32 v15, vcc, v3, v41, v3
	v_mul_f32_e32 v18, v15, v14
	v_fma_f32 v19, -v11, v18, v15
	v_fmac_f32_e32 v18, v19, v14
	v_fma_f32 v11, -v11, v18, v15
	v_div_fmas_f32 v11, v11, v14, v18
	v_div_fixup_f32 v3, v11, v41, v3
	v_fmac_f32_e32 v3, v41, v2
	v_add_f32_e32 v2, 0x4aa45f3c, v3
	v_add_f32_e32 v3, 0xbfab678a, v41
	v_div_scale_f32 v11, s[4:5], v3, v3, s26
	v_rcp_f32_e32 v14, v11
	v_fma_f32 v15, -v11, v14, 1.0
	v_fmac_f32_e32 v14, v15, v14
	v_div_scale_f32 v15, vcc, s26, v3, s26
	v_mul_f32_e32 v18, v15, v14
	v_fma_f32 v19, -v11, v18, v15
	v_fmac_f32_e32 v18, v19, v14
	v_fma_f32 v11, -v11, v18, v15
	v_div_fmas_f32 v11, v11, v14, v18
	v_div_fixup_f32 v43, v11, v3, s26
	v_fmac_f32_e32 v43, v58, v2
	v_mov_b32_e32 v2, 0x41934c39
	v_fmac_f32_e32 v2, 0xbe739c2f, v41
	v_mov_b32_e32 v3, 0xc47a8078
	;; [unrolled: 2-line block ×3, first 2 shown]
	s_mov_b32 s26, 0xcf2bbe86
	v_fmac_f32_e32 v11, v41, v3
	v_div_scale_f32 v3, s[4:5], v41, v41, s26
	v_mov_b32_e32 v2, 0xc968162b
	v_fmac_f32_e32 v2, v41, v11
	v_rcp_f32_e32 v11, v3
	v_fma_f32 v14, -v3, v11, 1.0
	v_fmac_f32_e32 v11, v14, v11
	v_div_scale_f32 v14, vcc, s26, v41, s26
	v_mul_f32_e32 v15, v14, v11
	v_fma_f32 v18, -v3, v15, v14
	v_fmac_f32_e32 v15, v18, v11
	v_fma_f32 v3, -v3, v15, v14
	v_div_fmas_f32 v3, v3, v11, v15
	v_div_fixup_f32 v3, v3, v41, s26
	v_add_f32_e32 v3, 0x4e7e374b, v3
	v_div_scale_f32 v11, s[4:5], v41, v41, v3
	s_mov_b32 s26, 0x407b535f
	v_rcp_f32_e32 v14, v11
	v_fma_f32 v15, -v11, v14, 1.0
	v_fmac_f32_e32 v14, v15, v14
	v_div_scale_f32 v15, vcc, v3, v41, v3
	v_mul_f32_e32 v18, v15, v14
	v_fma_f32 v19, -v11, v18, v15
	v_fmac_f32_e32 v18, v19, v14
	v_fma_f32 v11, -v11, v18, v15
	v_div_fmas_f32 v11, v11, v14, v18
	v_div_fixup_f32 v3, v11, v41, v3
	v_add_f32_e32 v3, 0xcd2479c9, v3
	v_div_scale_f32 v11, s[4:5], v41, v41, v3
	v_rcp_f32_e32 v14, v11
	v_fma_f32 v15, -v11, v14, 1.0
	v_fmac_f32_e32 v14, v15, v14
	v_div_scale_f32 v15, vcc, v3, v41, v3
	v_mul_f32_e32 v18, v15, v14
	v_fma_f32 v19, -v11, v18, v15
	v_fmac_f32_e32 v18, v19, v14
	v_fma_f32 v11, -v11, v18, v15
	v_div_fmas_f32 v11, v11, v14, v18
	v_div_fixup_f32 v3, v11, v41, v3
	v_fmac_f32_e32 v3, v41, v2
	v_add_f32_e32 v2, 0x4b74c7d3, v3
	v_add_f32_e32 v3, 0xc07b535f, v41
	v_div_scale_f32 v11, s[4:5], v3, v3, s26
	v_rcp_f32_e32 v14, v11
	v_fma_f32 v15, -v11, v14, 1.0
	v_fmac_f32_e32 v14, v15, v14
	v_div_scale_f32 v15, vcc, s26, v3, s26
	v_mul_f32_e32 v18, v15, v14
	v_fma_f32 v19, -v11, v18, v15
	v_fmac_f32_e32 v18, v19, v14
	v_fma_f32 v11, -v11, v18, v15
	v_div_fmas_f32 v11, v11, v14, v18
	v_div_fixup_f32 v44, v11, v3, s26
	v_fmac_f32_e32 v44, v58, v2
	v_mov_b32_e32 v2, 0xbeba9d10
	v_fmac_f32_e32 v2, 0xba1d77bb, v41
	v_mov_b32_e32 v3, 0x417bfe6a
	;; [unrolled: 2-line block ×5, first 2 shown]
	s_mov_b32 s26, 0x4c0527dc
	v_fmac_f32_e32 v2, v41, v3
	v_div_scale_f32 v3, s[4:5], v41, v41, s26
	v_rcp_f32_e32 v11, v3
	v_fma_f32 v14, -v3, v11, 1.0
	v_fmac_f32_e32 v11, v14, v11
	v_div_scale_f32 v14, vcc, s26, v41, s26
	v_mul_f32_e32 v15, v14, v11
	v_fma_f32 v18, -v3, v15, v14
	v_fmac_f32_e32 v15, v18, v11
	v_fma_f32 v3, -v3, v15, v14
	v_div_fmas_f32 v3, v3, v11, v15
	v_div_fixup_f32 v3, v3, v41, s26
	v_add_f32_e32 v3, 0xcb7baf74, v3
	v_div_scale_f32 v11, s[4:5], v41, v41, v3
	s_mov_b32 s26, 0x41096b0d
	v_rcp_f32_e32 v14, v11
	v_fma_f32 v15, -v11, v14, 1.0
	v_fmac_f32_e32 v14, v15, v14
	v_div_scale_f32 v15, vcc, v3, v41, v3
	v_mul_f32_e32 v18, v15, v14
	v_fma_f32 v19, -v11, v18, v15
	v_fmac_f32_e32 v18, v19, v14
	v_fma_f32 v11, -v11, v18, v15
	v_div_fmas_f32 v11, v11, v14, v18
	v_div_fixup_f32 v3, v11, v41, v3
	v_fmac_f32_e32 v3, v41, v2
	v_add_f32_e32 v2, 0x4a3529ce, v3
	v_add_f32_e32 v3, 0xc1096b0d, v41
	v_div_scale_f32 v11, s[4:5], v3, v3, s26
	v_rcp_f32_e32 v14, v11
	v_fma_f32 v15, -v11, v14, 1.0
	v_fmac_f32_e32 v14, v15, v14
	v_div_scale_f32 v15, vcc, s26, v3, s26
	v_mul_f32_e32 v18, v15, v14
	v_fma_f32 v19, -v11, v18, v15
	v_fmac_f32_e32 v18, v19, v14
	v_fma_f32 v11, -v11, v18, v15
	v_div_fmas_f32 v11, v11, v14, v18
	v_div_fixup_f32 v45, v11, v3, s26
	v_fmac_f32_e32 v45, v58, v2
	v_mov_b32_e32 v2, 0xbc1634c4
	v_fmac_f32_e32 v2, 0x3977e039, v41
	v_mov_b32_e32 v3, 0x3eeca3b6
	;; [unrolled: 2-line block ×5, first 2 shown]
	s_mov_b32 s26, 0x4c46ea5e
	v_fmac_f32_e32 v2, v41, v3
	v_div_scale_f32 v3, s[4:5], v41, v41, s26
	v_rcp_f32_e32 v10, v3
	v_fma_f32 v11, -v3, v10, 1.0
	v_fmac_f32_e32 v10, v11, v10
	v_div_scale_f32 v11, vcc, s26, v41, s26
	v_mul_f32_e32 v14, v11, v10
	v_fma_f32 v15, -v3, v14, v11
	v_fmac_f32_e32 v14, v15, v10
	v_fma_f32 v3, -v3, v14, v11
	v_div_fmas_f32 v3, v3, v10, v14
	v_div_fixup_f32 v3, v3, v41, s26
	v_add_f32_e32 v3, 0xcb4ca412, v3
	v_div_scale_f32 v10, s[4:5], v41, v41, v3
	s_mov_b32 s26, 0x4b6c15fd
	v_rcp_f32_e32 v11, v10
	v_fma_f32 v14, -v10, v11, 1.0
	v_fmac_f32_e32 v11, v14, v11
	v_div_scale_f32 v14, vcc, v3, v41, v3
	v_mul_f32_e32 v15, v14, v11
	v_fma_f32 v18, -v10, v15, v14
	v_fmac_f32_e32 v15, v18, v11
	v_fma_f32 v10, -v10, v15, v14
	v_div_fmas_f32 v10, v10, v11, v15
	v_div_fixup_f32 v3, v10, v41, v3
	v_add_f32_e32 v3, 0x498ac2e8, v3
	v_div_scale_f32 v10, s[4:5], v41, v41, v3
	v_rcp_f32_e32 v11, v10
	v_fma_f32 v14, -v10, v11, 1.0
	v_fmac_f32_e32 v11, v14, v11
	v_div_scale_f32 v14, vcc, v3, v41, v3
	v_mul_f32_e32 v15, v14, v11
	v_fma_f32 v18, -v10, v15, v14
	v_fmac_f32_e32 v15, v18, v11
	v_fma_f32 v10, -v10, v15, v14
	v_div_fmas_f32 v10, v10, v11, v15
	v_div_fixup_f32 v3, v10, v41, v3
	v_fmac_f32_e32 v3, v41, v2
	v_add_f32_e32 v2, 0xc52ff030, v3
	v_mul_f32_e32 v47, v58, v2
	v_mov_b32_e32 v2, 0xbd10f50f
	v_fmac_f32_e32 v2, 0x3a3f52db, v41
	v_mov_b32_e32 v3, 0x4004fd88
	v_fmac_f32_e32 v3, v41, v2
	;; [unrolled: 2-line block ×5, first 2 shown]
	v_div_scale_f32 v3, s[4:5], v41, v41, s26
	v_fmac_f32_e32 v47, 0x3c9ddd0b, v57
	v_rcp_f32_e32 v10, v3
	v_fma_f32 v11, -v3, v10, 1.0
	v_fmac_f32_e32 v10, v11, v10
	v_div_scale_f32 v11, vcc, s26, v41, s26
	v_mul_f32_e32 v14, v11, v10
	v_fma_f32 v15, -v3, v14, v11
	v_fmac_f32_e32 v14, v15, v10
	v_fma_f32 v3, -v3, v14, v11
	v_div_fmas_f32 v3, v3, v10, v14
	v_div_fixup_f32 v3, v3, v41, s26
	v_add_f32_e32 v3, 0xcaa08b90, v3
	v_div_scale_f32 v10, s[4:5], v41, v41, v3
	s_mov_b32 s4, 0x3e48f136
	v_rcp_f32_e32 v11, v10
	v_fma_f32 v14, -v10, v11, 1.0
	v_fmac_f32_e32 v11, v14, v11
	v_div_scale_f32 v14, vcc, v3, v41, v3
	v_mul_f32_e32 v15, v14, v11
	v_fma_f32 v18, -v10, v15, v14
	v_fmac_f32_e32 v15, v18, v11
	v_fma_f32 v10, -v10, v15, v14
	v_div_fmas_f32 v10, v10, v11, v15
	v_div_fixup_f32 v3, v10, v41, v3
	v_fmac_f32_e32 v3, v41, v2
	v_add_f32_e32 v2, 0x493b49f6, v3
	v_div_scale_f32 v3, s[26:27], v41, v41, s4
	v_mul_f32_e32 v56, v58, v2
	v_fmac_f32_e32 v56, 0x3e701b7a, v57
	v_rcp_f32_e32 v2, v3
	v_fma_f32 v10, -v3, v2, 1.0
	v_fmac_f32_e32 v2, v10, v2
	v_div_scale_f32 v10, vcc, s4, v41, s4
	v_mul_f32_e32 v11, v10, v2
	v_fma_f32 v14, -v3, v11, v10
	v_fmac_f32_e32 v11, v14, v2
	v_fma_f32 v3, -v3, v11, v10
	v_div_fmas_f32 v2, v3, v2, v11
	v_div_fixup_f32 v2, v2, v41, s4
	v_add_f32_e32 v2, 0xbefe708c, v2
	v_div_scale_f32 v3, s[4:5], v41, v41, v2
	v_rcp_f32_e32 v10, v3
	v_fma_f32 v11, -v3, v10, 1.0
	v_fmac_f32_e32 v10, v11, v10
	v_div_scale_f32 v11, vcc, v2, v41, v2
	v_mul_f32_e32 v14, v11, v10
	v_fma_f32 v15, -v3, v14, v11
	v_fmac_f32_e32 v14, v15, v10
	v_fma_f32 v3, -v3, v14, v11
	v_div_fmas_f32 v3, v3, v10, v14
	v_div_fixup_f32 v2, v3, v41, v2
	v_add_f32_e32 v2, 0xb87c50a3, v2
	v_fmac_f32_e32 v57, v58, v2
	v_sub_f32_e32 v2, v57, v56
	v_sub_f32_e32 v2, v2, v47
	v_sub_f32_e32 v11, v2, v46
                                        ; implicit-def: $vgpr41
.LBB0_67:
	s_andn2_saveexec_b64 s[26:27], s[6:7]
	s_cbranch_execz .LBB0_73
; %bb.68:
	s_mov_b32 s6, 0x3f490fdb
	v_div_scale_f32 v2, s[4:5], v41, v41, s6
	v_div_scale_f32 v3, vcc, s6, v41, s6
	s_mov_b32 s4, 0xf800000
                                        ; implicit-def: $vgpr46
                                        ; implicit-def: $vgpr47
                                        ; implicit-def: $vgpr56
                                        ; implicit-def: $vgpr45
                                        ; implicit-def: $vgpr44
                                        ; implicit-def: $vgpr43
                                        ; implicit-def: $vgpr42
	v_rcp_f32_e32 v10, v2
	v_fma_f32 v11, -v2, v10, 1.0
	v_fmac_f32_e32 v10, v11, v10
	v_mul_f32_e32 v11, v3, v10
	v_fma_f32 v14, -v2, v11, v3
	v_fmac_f32_e32 v11, v14, v10
	v_fma_f32 v2, -v2, v11, v3
	v_div_fmas_f32 v2, v2, v10, v11
	v_mov_b32_e32 v10, 0x260
	v_div_fixup_f32 v2, v2, v41, s6
	v_mul_f32_e32 v3, 0x4f800000, v2
	v_cmp_gt_f32_e32 vcc, s4, v2
	v_cndmask_b32_e32 v2, v2, v3, vcc
	v_sqrt_f32_e32 v3, v2
	s_mov_b32 s4, 0x42540000
	v_cmp_ge_f32_e64 s[4:5], s4, v41
	v_add_u32_e32 v11, -1, v3
	v_add_u32_e32 v14, 1, v3
	v_fma_f32 v15, -v11, v3, v2
	v_fma_f32 v18, -v14, v3, v2
	v_cmp_ge_f32_e64 s[6:7], 0, v15
	v_cndmask_b32_e64 v3, v3, v11, s[6:7]
	v_cmp_lt_f32_e64 s[6:7], 0, v18
	v_cndmask_b32_e64 v3, v3, v14, s[6:7]
	v_mul_f32_e32 v11, 0x37800000, v3
	v_cndmask_b32_e32 v3, v3, v11, vcc
	v_cmp_class_f32_e32 vcc, v2, v10
	v_cndmask_b32_e32 v10, v3, v2, vcc
                                        ; implicit-def: $vgpr11
	s_and_saveexec_b64 s[6:7], s[4:5]
	s_xor_b64 s[4:5], exec, s[6:7]
	s_cbranch_execz .LBB0_70
; %bb.69:
	v_mul_f32_e32 v2, 0xbfb8aa3b, v41
	s_mov_b32 s6, 0xbfb8aa3b
	v_rndne_f32_e32 v3, v2
	v_sub_f32_e32 v11, v2, v3
	v_fma_f32 v2, v41, s6, -v2
	v_fmac_f32_e32 v2, 0xb2a5705f, v41
	v_add_f32_e32 v2, v11, v2
	v_exp_f32_e32 v2, v2
	v_cvt_i32_f32_e32 v3, v3
	s_mov_b32 s6, 0x42ce8ed0
	v_cmp_nlt_f32_e32 vcc, s6, v41
	s_mov_b32 s6, 0xc2b17218
	v_ldexp_f32 v2, v2, v3
	v_cndmask_b32_e32 v2, 0, v2, vcc
	v_cmp_ngt_f32_e32 vcc, s6, v41
	v_mov_b32_e32 v3, 0x7f800000
	v_cndmask_b32_e32 v2, v3, v2, vcc
	v_cmp_eq_f32_e32 vcc, 1.0, v41
	v_frexp_mant_f32_e32 v14, v41
	s_mov_b32 s7, 0x3f2aaaab
	v_cndmask_b32_e64 v11, 4.0, 1.0, vcc
	v_cmp_gt_f32_e32 vcc, s7, v14
	v_cndmask_b32_e64 v15, 1.0, 2.0, vcc
	v_mul_f32_e32 v14, v14, v15
	v_add_f32_e32 v18, 1.0, v14
	v_add_f32_e32 v19, -1.0, v18
	v_add_f32_e32 v15, -1.0, v14
	v_sub_f32_e32 v14, v14, v19
	v_rcp_f32_e32 v19, v18
	s_mov_b32 s7, 0x3f317218
	s_mov_b32 s6, 0x7f800000
	;; [unrolled: 1-line block ×3, first 2 shown]
	v_mul_f32_e32 v42, v15, v19
	v_mul_f32_e32 v43, v18, v42
	v_fma_f32 v18, v42, v18, -v43
	v_fmac_f32_e32 v18, v42, v14
	v_add_f32_e32 v14, v43, v18
	v_sub_f32_e32 v44, v15, v14
	v_sub_f32_e32 v43, v14, v43
	;; [unrolled: 1-line block ×5, first 2 shown]
	v_add_f32_e32 v14, v15, v14
	v_add_f32_e32 v14, v44, v14
	v_mul_f32_e32 v14, v19, v14
	v_add_f32_e32 v18, v42, v14
	v_sub_f32_e32 v15, v18, v42
	v_sub_f32_e32 v19, v14, v15
	v_mul_f32_e32 v14, v18, v18
	v_fma_f32 v15, v18, v18, -v14
	v_add_f32_e32 v42, v19, v19
	v_fmac_f32_e32 v15, v18, v42
	v_add_f32_e32 v42, v14, v15
	v_mov_b32_e32 v43, 0x3e91f4c4
	v_sub_f32_e32 v14, v42, v14
	v_fmac_f32_e32 v43, 0x3e76c4e1, v42
	v_mov_b32_e32 v44, 0x3ecccdef
	v_sub_f32_e32 v14, v15, v14
	v_mul_f32_e32 v15, v18, v42
	v_fmac_f32_e32 v44, v42, v43
	v_fma_f32 v43, v42, v18, -v15
	v_fmac_f32_e32 v43, v42, v19
	v_fmac_f32_e32 v43, v14, v18
	v_add_f32_e32 v45, v15, v43
	v_sub_f32_e32 v15, v45, v15
	v_sub_f32_e32 v15, v43, v15
	v_mul_f32_e32 v43, v42, v44
	v_fma_f32 v42, v42, v44, -v43
	v_fmac_f32_e32 v42, v14, v44
	v_add_f32_e32 v14, v43, v42
	v_add_f32_e32 v44, 0x3f2aaaaa, v14
	v_sub_f32_e32 v43, v14, v43
	v_sub_f32_e32 v42, v42, v43
	v_add_f32_e32 v43, 0xbf2aaaaa, v44
	v_add_f32_e32 v42, 0x31739010, v42
	v_sub_f32_e32 v14, v14, v43
	v_add_f32_e32 v14, v42, v14
	v_add_f32_e32 v42, v44, v14
	v_sub_f32_e32 v43, v44, v42
	v_add_f32_e32 v14, v14, v43
	v_mul_f32_e32 v43, v45, v42
	v_fma_f32 v44, v45, v42, -v43
	v_fmac_f32_e32 v44, v45, v14
	v_fmac_f32_e32 v44, v15, v42
	v_cvt_f64_f32_e32 v[14:15], v41
	v_ldexp_f32 v18, v18, 1
	v_frexp_exp_i32_f64_e32 v14, v[14:15]
	v_subbrev_co_u32_e32 v14, vcc, 0, v14, vcc
	v_cvt_f32_i32_e32 v14, v14
	v_mul_f32_e32 v15, 0x3f317218, v14
	v_fma_f32 v42, v14, s7, -v15
	v_fmac_f32_e32 v42, 0xb102e308, v14
	v_ldexp_f32 v14, v19, 1
	v_add_f32_e32 v19, v15, v42
	v_sub_f32_e32 v15, v19, v15
	v_sub_f32_e32 v15, v42, v15
	v_add_f32_e32 v42, v43, v44
	v_sub_f32_e32 v43, v42, v43
	v_sub_f32_e32 v43, v44, v43
	;; [unrolled: 3-line block ×3, first 2 shown]
	v_add_f32_e32 v14, v14, v43
	v_add_f32_e32 v14, v14, v18
	;; [unrolled: 1-line block ×3, first 2 shown]
	v_sub_f32_e32 v42, v18, v44
	v_sub_f32_e32 v14, v14, v42
	v_add_f32_e32 v42, v19, v18
	v_sub_f32_e32 v43, v42, v19
	v_sub_f32_e32 v44, v42, v43
	;; [unrolled: 1-line block ×4, first 2 shown]
	v_add_f32_e32 v18, v18, v19
	v_add_f32_e32 v19, v15, v14
	v_sub_f32_e32 v43, v19, v15
	v_sub_f32_e32 v44, v19, v43
	;; [unrolled: 1-line block ×4, first 2 shown]
	v_add_f32_e32 v14, v14, v15
	v_add_f32_e32 v15, v19, v18
	;; [unrolled: 1-line block ×3, first 2 shown]
	v_sub_f32_e32 v19, v18, v42
	v_sub_f32_e32 v15, v15, v19
	v_add_f32_e32 v14, v14, v15
	v_add_f32_e32 v15, v18, v14
	v_sub_f32_e32 v18, v15, v18
	v_sub_f32_e32 v14, v14, v18
	v_mul_f32_e32 v18, v11, v15
	v_fma_f32 v15, v11, v15, -v18
	v_fmac_f32_e32 v15, v11, v14
	s_movk_i32 s7, 0x204
	v_add_f32_e32 v11, v18, v15
	v_cmp_class_f32_e64 vcc, v18, s7
	v_sub_f32_e32 v14, v11, v18
	v_cndmask_b32_e32 v11, v11, v18, vcc
	v_sub_f32_e32 v14, v15, v14
	v_cmp_neq_f32_e64 vcc, |v11|, s6
	s_mov_b32 s6, 0x42b17218
	v_cndmask_b32_e32 v14, 0, v14, vcc
	v_cmp_eq_f32_e32 vcc, s6, v11
	v_mov_b32_e32 v15, 0x37000000
	v_cndmask_b32_e32 v15, 0, v15, vcc
	v_sub_f32_e32 v11, v11, v15
	v_add_f32_e32 v14, v15, v14
	v_mul_f32_e32 v15, 0x3fb8aa3b, v11
	v_fma_f32 v18, v11, s28, -v15
	v_rndne_f32_e32 v19, v15
	v_fmac_f32_e32 v18, 0x32a5705f, v11
	v_sub_f32_e32 v15, v15, v19
	v_add_f32_e32 v15, v15, v18
	v_exp_f32_e32 v15, v15
	v_cvt_i32_f32_e32 v18, v19
	s_mov_b32 s28, 0xc2ce8ed0
	v_cmp_ngt_f32_e32 vcc, s28, v11
	s_mov_b32 s28, 0x41096b0d
	v_ldexp_f32 v15, v15, v18
	v_cndmask_b32_e32 v15, 0, v15, vcc
	v_cmp_nlt_f32_e32 vcc, s6, v11
	v_cndmask_b32_e32 v3, v3, v15, vcc
	v_fma_f32 v11, v3, v14, v3
	v_cmp_class_f32_e64 vcc, v3, s7
	v_cndmask_b32_e32 v3, v11, v3, vcc
	v_mov_b32_e32 v11, 0xbdf3ef08
	v_mul_f32_e64 v2, v2, |v3|
	v_fmac_f32_e32 v11, 0xbb0f9cc4, v41
	v_mov_b32_e32 v3, 0xbf400fa6
	v_fmac_f32_e32 v3, v41, v11
	v_add_f32_e32 v11, 0xc1096b0d, v41
	v_div_scale_f32 v14, s[6:7], v11, v11, s28
	v_rcp_f32_e32 v15, v14
	v_fma_f32 v18, -v14, v15, 1.0
	v_fmac_f32_e32 v15, v18, v15
	v_div_scale_f32 v18, vcc, s28, v11, s28
	v_mul_f32_e32 v19, v18, v15
	v_fma_f32 v42, -v14, v19, v18
	v_fmac_f32_e32 v19, v42, v15
	v_fma_f32 v14, -v14, v19, v18
	v_div_fmas_f32 v14, v14, v15, v19
	v_div_fixup_f32 v45, v14, v11, s28
	v_fmac_f32_e32 v45, v3, v2
	v_mov_b32_e32 v3, 0xbd383f42
	v_fmac_f32_e32 v3, 0xba7d3098, v41
	v_mov_b32_e32 v11, 0x3f1bd945
	v_fmac_f32_e32 v11, v41, v3
	v_add_f32_e32 v3, 0xc07b535f, v41
	s_mov_b32 s28, 0x407b535f
	v_div_scale_f32 v14, s[6:7], v3, v3, s28
	v_rcp_f32_e32 v15, v14
	v_fma_f32 v18, -v14, v15, 1.0
	v_fmac_f32_e32 v15, v18, v15
	v_div_scale_f32 v18, vcc, s28, v3, s28
	v_mul_f32_e32 v19, v18, v15
	v_fma_f32 v42, -v14, v19, v18
	v_fmac_f32_e32 v19, v42, v15
	v_fma_f32 v14, -v14, v19, v18
	v_div_fmas_f32 v14, v14, v15, v19
	v_div_fixup_f32 v44, v14, v3, s28
	v_mov_b32_e32 v3, 0xbc14f7f1
	v_fmac_f32_e32 v44, v11, v2
	v_fmac_f32_e32 v3, 0xb9be174b, v41
	v_mov_b32_e32 v11, 0x3e3cc2c7
	v_fmac_f32_e32 v11, v41, v3
	v_add_f32_e32 v3, 0xbfab678a, v41
	s_mov_b32 s28, 0x3fab678a
	v_div_scale_f32 v14, s[6:7], v3, v3, s28
	v_rcp_f32_e32 v15, v14
	v_fma_f32 v18, -v14, v15, 1.0
	v_fmac_f32_e32 v15, v18, v15
	v_div_scale_f32 v18, vcc, s28, v3, s28
	v_mul_f32_e32 v19, v18, v15
	v_fma_f32 v42, -v14, v19, v18
	v_fmac_f32_e32 v19, v42, v15
	v_fma_f32 v14, -v14, v19, v18
	v_div_fmas_f32 v14, v14, v15, v19
	v_div_fixup_f32 v43, v14, v3, s28
	v_fmac_f32_e32 v43, v11, v2
	v_mov_b32_e32 v11, 0xba3493bb
	v_fmac_f32_e32 v11, 0xb82af128, v41
	v_mov_b32_e32 v3, 0x3c8f228e
	v_fmac_f32_e32 v3, v41, v11
	v_add_f32_e32 v11, 0xbe14ca72, v41
	s_mov_b32 s28, 0x3e14ca72
	v_div_scale_f32 v14, s[6:7], v11, v11, s28
	v_rcp_f32_e32 v15, v14
	v_fma_f32 v18, -v14, v15, 1.0
	v_fmac_f32_e32 v15, v18, v15
	v_div_scale_f32 v18, vcc, s28, v11, s28
	v_mul_f32_e32 v19, v18, v15
	v_fma_f32 v42, -v14, v19, v18
	v_fmac_f32_e32 v19, v42, v15
	v_fma_f32 v14, -v14, v19, v18
	v_div_fmas_f32 v14, v14, v15, v19
	v_div_fixup_f32 v42, v14, v11, s28
	v_fmac_f32_e32 v42, v3, v2
	v_mov_b32_e32 v3, 0xb8a5812b
	v_fmac_f32_e32 v3, 0x36c17c4f, v41
	v_mov_b32_e32 v11, 0x39ac1f68
	;; [unrolled: 2-line block ×3, first 2 shown]
	v_mul_f32_e32 v46, v11, v2
	v_fmac_f32_e32 v3, 0x395a69c1, v41
	v_mov_b32_e32 v11, 0x3cabea3c
	v_fmac_f32_e32 v11, v41, v3
	v_mov_b32_e32 v3, 0xbc4f9ac2
	v_mul_f32_e32 v47, v11, v2
	v_fmac_f32_e32 v3, 0x3a219432, v41
	v_mov_b32_e32 v11, 0x3da6cf84
	v_fmac_f32_e32 v11, v41, v3
	v_mul_f32_e32 v56, v11, v2
	v_fmac_f32_e32 v56, 0x3e701b7a, v10
	v_fmac_f32_e32 v47, 0x3c9ddd0b, v10
	v_sub_f32_e32 v2, v10, v56
	v_fmac_f32_e32 v46, 0x396c2b78, v10
	v_sub_f32_e32 v2, v2, v47
	v_sub_f32_e32 v11, v2, v46
                                        ; implicit-def: $vgpr41
                                        ; implicit-def: $vgpr10
.LBB0_70:
	s_andn2_saveexec_b64 s[4:5], s[4:5]
	s_cbranch_execz .LBB0_72
; %bb.71:
	v_add_f32_e32 v2, 0xbe14ca72, v41
	s_mov_b32 s28, 0x3e14ca72
	v_div_scale_f32 v3, s[6:7], v2, v2, s28
	v_mul_f32_e32 v46, 0x396c2b78, v10
	v_mul_f32_e32 v47, 0x3c9ddd0b, v10
	;; [unrolled: 1-line block ×3, first 2 shown]
	v_rcp_f32_e32 v11, v3
	v_fma_f32 v14, -v3, v11, 1.0
	v_fmac_f32_e32 v11, v14, v11
	v_div_scale_f32 v14, vcc, s28, v2, s28
	v_mul_f32_e32 v15, v14, v11
	v_fma_f32 v18, -v3, v15, v14
	v_fmac_f32_e32 v15, v18, v11
	v_fma_f32 v3, -v3, v15, v14
	v_div_fmas_f32 v3, v3, v11, v15
	v_div_fixup_f32 v42, v3, v2, s28
	v_add_f32_e32 v2, 0xbfab678a, v41
	s_mov_b32 s28, 0x3fab678a
	v_div_scale_f32 v3, s[6:7], v2, v2, s28
	v_rcp_f32_e32 v11, v3
	v_fma_f32 v14, -v3, v11, 1.0
	v_fmac_f32_e32 v11, v14, v11
	v_div_scale_f32 v14, vcc, s28, v2, s28
	v_mul_f32_e32 v15, v14, v11
	v_fma_f32 v18, -v3, v15, v14
	v_fmac_f32_e32 v15, v18, v11
	v_fma_f32 v3, -v3, v15, v14
	v_div_fmas_f32 v3, v3, v11, v15
	v_div_fixup_f32 v43, v3, v2, s28
	v_add_f32_e32 v2, 0xc07b535f, v41
	s_mov_b32 s28, 0x407b535f
	v_div_scale_f32 v3, s[6:7], v2, v2, s28
	;; [unrolled: 13-line block ×3, first 2 shown]
	v_rcp_f32_e32 v11, v3
	v_fma_f32 v14, -v3, v11, 1.0
	v_fmac_f32_e32 v11, v14, v11
	v_div_scale_f32 v14, vcc, s28, v2, s28
	v_mul_f32_e32 v15, v14, v11
	v_fma_f32 v18, -v3, v15, v14
	v_fmac_f32_e32 v15, v18, v11
	v_fma_f32 v3, -v3, v15, v14
	v_div_fmas_f32 v3, v3, v11, v15
	v_mov_b32_e32 v11, v10
	v_fmac_f32_e32 v11, 0xbe701b7a, v11
	v_fmac_f32_e32 v11, 0xbc9ddd0b, v10
	v_fmac_f32_e32 v11, 0xb96c2b78, v10
	v_div_fixup_f32 v45, v3, v2, s28
.LBB0_72:
	s_or_b64 exec, exec, s[4:5]
.LBB0_73:
	s_or_b64 exec, exec, s[26:27]
.LBB0_74:
	s_or_b64 exec, exec, s[24:25]
.LBB0_75:
	s_or_b64 exec, exec, s[22:23]
.LBB0_76:
	s_or_b64 exec, exec, s[20:21]
.LBB0_77:
	s_or_b64 exec, exec, s[18:19]
.LBB0_78:
	s_or_b64 exec, exec, s[16:17]
.LBB0_79:
	s_or_b64 exec, exec, s[14:15]
	buffer_store_dword v42, off, s[0:3], s32 offset:64
	buffer_store_dword v11, off, s[0:3], s32 offset:96
	;; [unrolled: 1-line block ×8, first 2 shown]
.LBB0_80:
	s_or_b64 exec, exec, s[12:13]
.LBB0_81:
	s_or_b64 exec, exec, s[10:11]
                                        ; implicit-def: $vgpr41
.LBB0_82:
	s_andn2_saveexec_b64 s[8:9], s[8:9]
	s_cbranch_execz .LBB0_221
; %bb.83:
	s_mov_b32 s4, 0x34a10fb0
	v_cmp_ngt_f32_e32 vcc, s4, v41
                                        ; implicit-def: $vgpr46
                                        ; implicit-def: $vgpr10
                                        ; implicit-def: $vgpr43
                                        ; implicit-def: $vgpr45
                                        ; implicit-def: $vgpr44
                                        ; implicit-def: $vgpr42
	s_and_saveexec_b64 s[4:5], vcc
	s_xor_b64 s[10:11], exec, s[4:5]
	s_cbranch_execz .LBB0_202
; %bb.84:
	v_cmp_ngt_f32_e32 vcc, 1.0, v41
                                        ; implicit-def: $vgpr46
                                        ; implicit-def: $vgpr10
                                        ; implicit-def: $vgpr43
                                        ; implicit-def: $vgpr45
                                        ; implicit-def: $vgpr44
                                        ; implicit-def: $vgpr42
	s_and_saveexec_b64 s[4:5], vcc
	s_xor_b64 s[12:13], exec, s[4:5]
	s_cbranch_execz .LBB0_188
; %bb.85:
	s_mov_b32 s4, 0x40400000
	v_cmp_ngt_f32_e32 vcc, s4, v41
                                        ; implicit-def: $vgpr46
                                        ; implicit-def: $vgpr10
                                        ; implicit-def: $vgpr43
                                        ; implicit-def: $vgpr45
                                        ; implicit-def: $vgpr44
                                        ; implicit-def: $vgpr42
	s_and_saveexec_b64 s[4:5], vcc
	s_xor_b64 s[14:15], exec, s[4:5]
	s_cbranch_execz .LBB0_174
; %bb.86:
	s_mov_b32 s4, 0x40a00000
	v_cmp_ngt_f32_e32 vcc, s4, v41
	;; [unrolled: 12-line block ×5, first 2 shown]
                                        ; implicit-def: $vgpr46
                                        ; implicit-def: $vgpr10
                                        ; implicit-def: $vgpr43
                                        ; implicit-def: $vgpr45
                                        ; implicit-def: $vgpr44
                                        ; implicit-def: $vgpr42
	s_and_saveexec_b64 s[4:5], vcc
	s_xor_b64 s[22:23], exec, s[4:5]
	s_cbranch_execz .LBB0_111
; %bb.90:
	s_mov_b32 s6, 0x3f490fdb
	v_div_scale_f32 v2, s[4:5], v41, v41, s6
	v_div_scale_f32 v3, vcc, s6, v41, s6
	s_mov_b32 s4, 0xf800000
                                        ; implicit-def: $vgpr46
                                        ; implicit-def: $vgpr45
                                        ; implicit-def: $vgpr44
                                        ; implicit-def: $vgpr42
	v_rcp_f32_e32 v10, v2
	v_fma_f32 v11, -v2, v10, 1.0
	v_fmac_f32_e32 v10, v11, v10
	v_mul_f32_e32 v11, v3, v10
	v_fma_f32 v14, -v2, v11, v3
	v_fmac_f32_e32 v11, v14, v10
	v_fma_f32 v2, -v2, v11, v3
	v_div_fmas_f32 v2, v2, v10, v11
	v_mov_b32_e32 v10, 0x260
	v_div_fixup_f32 v2, v2, v41, s6
	v_mul_f32_e32 v3, 0x4f800000, v2
	v_cmp_gt_f32_e32 vcc, s4, v2
	v_cndmask_b32_e32 v2, v2, v3, vcc
	v_sqrt_f32_e32 v3, v2
	v_add_u32_e32 v11, -1, v3
	v_add_u32_e32 v14, 1, v3
	v_fma_f32 v15, -v11, v3, v2
	v_fma_f32 v18, -v14, v3, v2
	v_cmp_ge_f32_e64 s[4:5], 0, v15
	v_cndmask_b32_e64 v3, v3, v11, s[4:5]
	v_cmp_lt_f32_e64 s[4:5], 0, v18
	v_cndmask_b32_e64 v3, v3, v14, s[4:5]
	v_mul_f32_e32 v11, 0x37800000, v3
	v_cndmask_b32_e32 v3, v3, v11, vcc
	v_cmp_class_f32_e32 vcc, v2, v10
	v_cndmask_b32_e32 v43, v3, v2, vcc
	buffer_load_dword v2, off, s[0:3], s32 offset:324 ; 4-byte Folded Reload
                                        ; implicit-def: $vgpr10
	s_waitcnt vmcnt(0)
	v_cmp_lt_i32_e32 vcc, 0, v2
	s_and_saveexec_b64 s[4:5], vcc
	s_xor_b64 s[24:25], exec, s[4:5]
	s_cbranch_execz .LBB0_106
; %bb.91:
	buffer_load_dword v2, off, s[0:3], s32 offset:324 ; 4-byte Folded Reload
                                        ; implicit-def: $vgpr46
                                        ; implicit-def: $vgpr10
                                        ; implicit-def: $vgpr45
                                        ; implicit-def: $vgpr44
                                        ; implicit-def: $vgpr42
	s_waitcnt vmcnt(0)
	v_cmp_lt_i32_e32 vcc, 1, v2
	s_and_saveexec_b64 s[4:5], vcc
	s_xor_b64 s[26:27], exec, s[4:5]
	s_cbranch_execz .LBB0_99
; %bb.92:
	buffer_load_dword v2, off, s[0:3], s32 offset:324 ; 4-byte Folded Reload
	v_mov_b32_e32 v46, 0
	v_mov_b32_e32 v10, 0
	;; [unrolled: 1-line block ×5, first 2 shown]
	s_waitcnt vmcnt(0)
	v_cmp_eq_u32_e32 vcc, 2, v2
	s_and_saveexec_b64 s[28:29], vcc
	s_cbranch_execz .LBB0_98
; %bb.93:
	s_mov_b32 s4, 0x423c0000
	v_cmp_ngt_f32_e32 vcc, s4, v41
                                        ; implicit-def: $vgpr46
                                        ; implicit-def: $vgpr10
                                        ; implicit-def: $vgpr45
                                        ; implicit-def: $vgpr44
                                        ; implicit-def: $vgpr42
	s_and_saveexec_b64 s[4:5], vcc
	s_xor_b64 s[40:41], exec, s[4:5]
	s_cbranch_execz .LBB0_95
; %bb.94:
	v_add_f32_e32 v2, 0xbe42ba39, v41
	s_mov_b32 s42, 0x3e42ba39
	v_div_scale_f32 v3, s[4:5], v2, v2, s42
	v_add_f32_e32 v10, 0xbfe46a42, v41
	s_mov_b32 s43, 0x3fe46a42
	v_div_scale_f32 v11, s[4:5], v10, v10, s43
	v_div_scale_f32 v14, vcc, s42, v2, s42
	v_div_scale_f32 v18, s[4:5], s43, v10, s43
	v_add_f32_e32 v15, 0xc0b0cf9e, v41
	s_mov_b32 s44, 0x40b0cf9e
	v_div_scale_f32 v19, s[6:7], v15, v15, s44
	v_div_scale_f32 v42, s[6:7], s44, v15, s44
	v_rcp_f32_e32 v41, v3
	v_rcp_f32_e32 v44, v11
	v_fma_f32 v45, -v3, v41, 1.0
	v_fmac_f32_e32 v41, v45, v41
	v_mul_f32_e32 v45, v14, v41
	v_fma_f32 v46, -v3, v45, v14
	v_fmac_f32_e32 v45, v46, v41
	v_fma_f32 v3, -v3, v45, v14
	v_fma_f32 v14, -v11, v44, 1.0
	v_fmac_f32_e32 v44, v14, v44
	v_mul_f32_e32 v14, v18, v44
	v_div_fmas_f32 v3, v3, v41, v45
	v_fma_f32 v41, -v11, v14, v18
	v_fmac_f32_e32 v14, v41, v44
	v_rcp_f32_e32 v41, v19
	v_fma_f32 v11, -v11, v14, v18
	s_mov_b64 vcc, s[4:5]
	v_div_fmas_f32 v11, v11, v44, v14
	v_fma_f32 v14, -v19, v41, 1.0
	v_fmac_f32_e32 v41, v14, v41
	v_mul_f32_e32 v14, v42, v41
	v_fma_f32 v18, -v19, v14, v42
	v_fmac_f32_e32 v14, v18, v41
	v_fma_f32 v18, -v19, v14, v42
	s_mov_b64 vcc, s[6:7]
	v_div_fmas_f32 v14, v18, v41, v14
	v_mul_f32_e32 v46, 0x3ba77ef2, v43
	v_div_fixup_f32 v42, v3, v2, s42
	v_mov_b32_e32 v2, v43
	v_fmac_f32_e32 v2, 0xbe357c2c, v2
	v_fmac_f32_e32 v2, 0xbba77ef2, v43
                                        ; implicit-def: $vgpr41
	v_div_fixup_f32 v44, v11, v10, s43
	v_mul_f32_e32 v10, 0x3e357c2c, v43
	v_mov_b32_e32 v43, v2
	v_div_fixup_f32 v45, v14, v15, s44
.LBB0_95:
	s_andn2_saveexec_b64 s[4:5], s[40:41]
	s_cbranch_execz .LBB0_97
; %bb.96:
	v_mul_f32_e32 v2, 0xbfb8aa3b, v41
	s_mov_b32 s6, 0xbfb8aa3b
	v_rndne_f32_e32 v3, v2
	v_sub_f32_e32 v10, v2, v3
	v_fma_f32 v2, v41, s6, -v2
	v_fmac_f32_e32 v2, 0xb2a5705f, v41
	v_add_f32_e32 v2, v10, v2
	v_exp_f32_e32 v2, v2
	v_cvt_i32_f32_e32 v3, v3
	s_mov_b32 s6, 0x42ce8ed0
	v_cmp_nlt_f32_e32 vcc, s6, v41
	s_mov_b32 s6, 0xc2b17218
	v_ldexp_f32 v2, v2, v3
	v_cndmask_b32_e32 v2, 0, v2, vcc
	v_cmp_ngt_f32_e32 vcc, s6, v41
	v_mov_b32_e32 v3, 0x7f800000
	v_cndmask_b32_e32 v2, v3, v2, vcc
	v_mov_b32_e32 v3, 0x43a0a8c0
	v_fmac_f32_e32 v3, 0xc0ec7fab, v41
	v_mov_b32_e32 v10, 0xc579a564
	v_fmac_f32_e32 v10, v41, v3
	v_add_f32_e32 v3, 0xbe42ba39, v41
	s_mov_b32 s40, 0x3e42ba39
	v_div_scale_f32 v11, s[6:7], v3, v3, s40
	v_rcp_f32_e32 v14, v11
	v_fma_f32 v15, -v11, v14, 1.0
	v_fmac_f32_e32 v14, v15, v14
	v_div_scale_f32 v15, vcc, s40, v3, s40
	v_mul_f32_e32 v18, v15, v14
	v_fma_f32 v19, -v11, v18, v15
	v_fmac_f32_e32 v18, v19, v14
	v_fma_f32 v11, -v11, v18, v15
	v_div_fmas_f32 v11, v11, v14, v18
	v_div_fixup_f32 v42, v11, v3, s40
	v_mov_b32_e32 v3, 0x4543fb32
	v_fmac_f32_e32 v42, v2, v10
	v_fmac_f32_e32 v3, 0xc293bec9, v41
	v_mov_b32_e32 v10, 0xc7171e49
	v_fmac_f32_e32 v10, v41, v3
	v_add_f32_e32 v3, 0xbfe46a42, v41
	s_mov_b32 s40, 0x3fe46a42
	v_div_scale_f32 v11, s[6:7], v3, v3, s40
	v_rcp_f32_e32 v14, v11
	v_fma_f32 v15, -v11, v14, 1.0
	v_fmac_f32_e32 v14, v15, v14
	v_div_scale_f32 v15, vcc, s40, v3, s40
	v_mul_f32_e32 v18, v15, v14
	v_fma_f32 v19, -v11, v18, v15
	v_fmac_f32_e32 v18, v19, v14
	v_fma_f32 v11, -v11, v18, v15
	v_div_fmas_f32 v11, v11, v14, v18
	v_div_fixup_f32 v44, v11, v3, s40
	v_fmac_f32_e32 v44, v2, v10
	v_mov_b32_e32 v10, 0x462324de
	v_fmac_f32_e32 v10, 0xc383e013, v41
	v_mov_b32_e32 v3, 0xc7fa2f4a
	v_fmac_f32_e32 v3, v41, v10
	v_add_f32_e32 v10, 0xc0b0cf9e, v41
	s_mov_b32 s40, 0x40b0cf9e
	v_div_scale_f32 v11, s[6:7], v10, v10, s40
	v_rcp_f32_e32 v14, v11
	v_fma_f32 v15, -v11, v14, 1.0
	v_fmac_f32_e32 v14, v15, v14
	v_div_scale_f32 v15, vcc, s40, v10, s40
	v_mul_f32_e32 v18, v15, v14
	v_fma_f32 v19, -v11, v18, v15
	v_fmac_f32_e32 v18, v19, v14
	v_fma_f32 v11, -v11, v18, v15
	v_div_fmas_f32 v11, v11, v14, v18
	v_div_fixup_f32 v45, v11, v10, s40
	v_fmac_f32_e32 v45, v2, v3
	v_mov_b32_e32 v3, 0xc104e7e9
	v_fmac_f32_e32 v3, 0x3e1be9c5, v41
	v_mov_b32_e32 v10, 0x4340fa35
	;; [unrolled: 2-line block ×3, first 2 shown]
	v_fmac_f32_e32 v3, v41, v10
	v_mul_f32_e32 v46, v2, v3
	v_mov_b32_e32 v3, 0xc5367ce7
	v_fmac_f32_e32 v3, 0x42760770, v41
	v_mov_b32_e32 v10, 0x4714bf6e
	v_fmac_f32_e32 v10, v41, v3
	v_mul_f32_e32 v10, v2, v10
	v_fmac_f32_e32 v10, 0x3e357c2c, v43
	v_fmac_f32_e32 v46, 0x3ba77ef2, v43
	v_sub_f32_e32 v2, v43, v10
	v_sub_f32_e32 v43, v2, v46
.LBB0_97:
	s_or_b64 exec, exec, s[4:5]
.LBB0_98:
	s_or_b64 exec, exec, s[28:29]
                                        ; implicit-def: $vgpr41
.LBB0_99:
	s_andn2_saveexec_b64 s[6:7], s[26:27]
	s_cbranch_execz .LBB0_105
; %bb.100:
	s_mov_b32 s4, 0x42200000
	v_cmp_ngt_f32_e32 vcc, s4, v41
                                        ; implicit-def: $vgpr10
                                        ; implicit-def: $vgpr44
                                        ; implicit-def: $vgpr42
	s_and_saveexec_b64 s[4:5], vcc
	s_xor_b64 s[26:27], exec, s[4:5]
	s_cbranch_execz .LBB0_102
; %bb.101:
	v_add_f32_e32 v2, 0xbe8cee3d, v41
	s_mov_b32 s28, 0x3e8cee3d
	v_div_scale_f32 v3, s[4:5], v2, v2, s28
	v_add_f32_e32 v11, 0xc02e6238, v41
	s_mov_b32 s29, 0x402e6238
	v_div_scale_f32 v10, s[4:5], v11, v11, s29
	v_div_scale_f32 v14, vcc, s28, v2, s28
	v_div_scale_f32 v15, s[4:5], s29, v11, s29
	v_rcp_f32_e32 v18, v3
	v_rcp_f32_e32 v19, v10
	v_fma_f32 v41, -v3, v18, 1.0
	v_fmac_f32_e32 v18, v41, v18
	v_mul_f32_e32 v41, v14, v18
	v_fma_f32 v42, -v10, v19, 1.0
	v_fmac_f32_e32 v19, v42, v19
	v_mul_f32_e32 v42, v15, v19
	v_fma_f32 v44, -v3, v41, v14
	v_fma_f32 v45, -v10, v42, v15
	v_fmac_f32_e32 v41, v44, v18
	v_fmac_f32_e32 v42, v45, v19
	v_fma_f32 v3, -v3, v41, v14
	v_fma_f32 v10, -v10, v42, v15
	v_div_fmas_f32 v3, v3, v18, v41
	s_mov_b64 vcc, s[4:5]
	v_div_fmas_f32 v14, v10, v19, v42
	v_mul_f32_e32 v10, 0x3dbbe852, v43
	v_fmac_f32_e32 v43, 0xbdbbe852, v43
                                        ; implicit-def: $vgpr41
	v_div_fixup_f32 v42, v3, v2, s28
	v_div_fixup_f32 v44, v14, v11, s29
.LBB0_102:
	s_andn2_saveexec_b64 s[26:27], s[26:27]
	s_cbranch_execz .LBB0_104
; %bb.103:
	v_add_f32_e32 v2, 0xbe8cee3d, v41
	s_mov_b32 s28, 0x3e8cee3d
	v_div_scale_f32 v3, s[4:5], v2, v2, s28
	v_div_scale_f32 v11, vcc, s28, v2, s28
	v_add_f32_e32 v14, 0xc02e6238, v41
	s_mov_b32 s40, 0x402e6238
	v_div_scale_f32 v15, s[4:5], v14, v14, s40
	v_div_scale_f32 v42, s[4:5], s40, v14, s40
	v_mul_f32_e32 v10, 0xbfb8aa3b, v41
	s_mov_b32 s29, 0xbfb8aa3b
	v_rndne_f32_e32 v18, v10
	v_sub_f32_e32 v19, v10, v18
	v_fma_f32 v10, v41, s29, -v10
	v_fmac_f32_e32 v10, 0xb2a5705f, v41
	v_rcp_f32_e32 v44, v3
	v_add_f32_e32 v10, v19, v10
	v_exp_f32_e32 v10, v10
	v_cvt_i32_f32_e32 v18, v18
	v_fma_f32 v19, -v3, v44, 1.0
	v_fmac_f32_e32 v44, v19, v44
	v_mul_f32_e32 v19, v11, v44
	v_fma_f32 v45, -v3, v19, v11
	v_fmac_f32_e32 v19, v45, v44
	v_rcp_f32_e32 v45, v15
	v_fma_f32 v3, -v3, v19, v11
	v_div_fmas_f32 v3, v3, v44, v19
	s_mov_b64 vcc, s[4:5]
	v_fma_f32 v11, -v15, v45, 1.0
	v_fmac_f32_e32 v45, v11, v45
	v_mul_f32_e32 v11, v42, v45
	v_fma_f32 v19, -v15, v11, v42
	v_fmac_f32_e32 v11, v19, v45
	v_fma_f32 v15, -v15, v11, v42
	v_div_fmas_f32 v11, v15, v45, v11
	s_mov_b32 s4, 0x42ce8ed0
	v_ldexp_f32 v10, v10, v18
	v_cmp_nlt_f32_e32 vcc, s4, v41
	s_mov_b32 s4, 0xc2b17218
	v_cndmask_b32_e32 v10, 0, v10, vcc
	v_mov_b32_e32 v15, 0x7f800000
	v_cmp_ngt_f32_e32 vcc, s4, v41
	v_div_fixup_f32 v42, v3, v2, s28
	v_mov_b32_e32 v2, 0x42a220e4
	v_cndmask_b32_e32 v15, v15, v10, vcc
	v_mov_b32_e32 v10, 0x412eca38
	v_fmac_f32_e32 v2, 0xc1149fe8, v41
	v_fmac_f32_e32 v10, 0xbf6102b1, v41
	;; [unrolled: 1-line block ×3, first 2 shown]
	v_mul_f32_e32 v10, 0x3dbbe852, v43
	v_div_fixup_f32 v44, v11, v14, s40
	v_fmac_f32_e32 v44, v15, v2
	v_mov_b32_e32 v2, 0xc29bd9a2
	v_fmac_f32_e32 v2, 0x408efe8f, v41
	v_fmac_f32_e32 v10, v15, v2
	v_sub_f32_e32 v43, v43, v10
.LBB0_104:
	s_or_b64 exec, exec, s[26:27]
	v_mov_b32_e32 v46, 0
	v_mov_b32_e32 v45, 0
.LBB0_105:
	s_or_b64 exec, exec, s[6:7]
                                        ; implicit-def: $vgpr41
.LBB0_106:
	s_andn2_saveexec_b64 s[4:5], s[24:25]
	s_cbranch_execz .LBB0_110
; %bb.107:
	buffer_load_dword v2, off, s[0:3], s32 offset:324 ; 4-byte Folded Reload
	v_mov_b32_e32 v46, 0
	v_mov_b32_e32 v42, 0
	s_waitcnt vmcnt(0)
	v_cmp_eq_u32_e32 vcc, 0, v2
	s_and_saveexec_b64 s[6:7], vcc
	s_cbranch_execz .LBB0_109
; %bb.108:
	v_add_f32_e32 v2, -0.5, v41
	v_div_scale_f32 v3, s[24:25], v2, v2, 0.5
	v_div_scale_f32 v10, vcc, 0.5, v2, 0.5
	v_rcp_f32_e32 v11, v3
	v_fma_f32 v14, -v3, v11, 1.0
	v_fmac_f32_e32 v11, v14, v11
	v_mul_f32_e32 v14, v10, v11
	v_fma_f32 v15, -v3, v14, v10
	v_fmac_f32_e32 v14, v15, v11
	v_fma_f32 v3, -v3, v14, v10
	v_div_fmas_f32 v3, v3, v11, v14
	v_div_fixup_f32 v42, v3, v2, 0.5
.LBB0_109:
	s_or_b64 exec, exec, s[6:7]
	v_mov_b32_e32 v10, 0
	v_mov_b32_e32 v45, 0
	;; [unrolled: 1-line block ×3, first 2 shown]
.LBB0_110:
	s_or_b64 exec, exec, s[4:5]
                                        ; implicit-def: $vgpr41
.LBB0_111:
	s_andn2_saveexec_b64 s[6:7], s[22:23]
	s_cbranch_execz .LBB0_129
; %bb.112:
	s_mov_b32 s22, 0x3e48f136
	v_div_scale_f32 v2, s[4:5], v41, v41, s22
	v_div_scale_f32 v3, vcc, s22, v41, s22
	s_mov_b32 s24, 0x3f490fdb
	v_mul_f32_e32 v18, 0xbfb8aa3b, v41
                                        ; implicit-def: $vgpr46
                                        ; implicit-def: $vgpr45
                                        ; implicit-def: $vgpr44
	v_rcp_f32_e32 v10, v2
	v_fma_f32 v11, -v2, v10, 1.0
	v_fmac_f32_e32 v10, v11, v10
	v_mul_f32_e32 v11, v3, v10
	v_fma_f32 v14, -v2, v11, v3
	v_fmac_f32_e32 v11, v14, v10
	v_fma_f32 v2, -v2, v11, v3
	v_div_fmas_f32 v2, v2, v10, v11
	v_div_scale_f32 v3, s[4:5], v41, v41, s24
	v_div_scale_f32 v10, s[4:5], s24, v41, s24
	v_div_fixup_f32 v2, v2, v41, s22
	v_add_f32_e32 v2, 0xbefe708c, v2
	v_div_scale_f32 v11, s[22:23], v41, v41, v2
	v_div_scale_f32 v14, vcc, v2, v41, v2
	v_rcp_f32_e32 v15, v3
	s_mov_b32 s22, 0xbfb8aa3b
	s_mov_b32 s23, 0x42ce8ed0
	v_fma_f32 v19, -v3, v15, 1.0
	v_fmac_f32_e32 v15, v19, v15
	v_mul_f32_e32 v19, v10, v15
	v_fma_f32 v43, -v3, v19, v10
	v_fmac_f32_e32 v19, v43, v15
	v_fma_f32 v3, -v3, v19, v10
	v_rcp_f32_e32 v42, v11
	v_fma_f32 v10, -v11, v42, 1.0
	v_fmac_f32_e32 v42, v10, v42
	v_mul_f32_e32 v10, v14, v42
	v_fma_f32 v43, -v11, v10, v14
	v_fmac_f32_e32 v10, v43, v42
	v_fma_f32 v11, -v11, v10, v14
	v_div_fmas_f32 v10, v11, v42, v10
	s_mov_b64 vcc, s[4:5]
	v_div_fmas_f32 v3, v3, v15, v19
	v_rndne_f32_e32 v11, v18
	v_fma_f32 v15, v41, s22, -v18
	v_sub_f32_e32 v18, v18, v11
	v_fmac_f32_e32 v15, 0xb2a5705f, v41
	v_cvt_i32_f32_e32 v19, v11
	v_add_f32_e32 v11, v18, v15
	v_exp_f32_e32 v15, v11
	s_mov_b32 s5, 0xf800000
	v_cmp_nlt_f32_e32 vcc, s23, v41
	s_mov_b32 s4, 0xc2b17218
	v_ldexp_f32 v15, v15, v19
	v_cndmask_b32_e32 v15, 0, v15, vcc
	v_mov_b32_e32 v14, 0x7f800000
	v_div_fixup_f32 v2, v10, v41, v2
	v_mov_b32_e32 v18, 0x260
	v_div_fixup_f32 v3, v3, v41, s24
	v_mul_f32_e32 v19, 0x4f800000, v3
	v_cmp_gt_f32_e32 vcc, s5, v3
	v_cndmask_b32_e32 v3, v3, v19, vcc
	v_sqrt_f32_e32 v19, v3
	v_cmp_ngt_f32_e64 s[4:5], s4, v41
	v_cndmask_b32_e64 v56, v14, v15, s[4:5]
	v_add_f32_e32 v2, 0xb87c50a3, v2
	v_add_u32_e32 v10, -1, v19
	v_add_u32_e32 v14, 1, v19
	v_fma_f32 v15, -v10, v19, v3
	v_fma_f32 v42, -v14, v19, v3
	v_cmp_ge_f32_e64 s[4:5], 0, v15
	v_cndmask_b32_e64 v10, v19, v10, s[4:5]
	v_cmp_lt_f32_e64 s[4:5], 0, v42
	v_cndmask_b32_e64 v10, v10, v14, s[4:5]
	v_mul_f32_e32 v14, 0x37800000, v10
	v_cndmask_b32_e32 v10, v10, v14, vcc
	v_cmp_class_f32_e32 vcc, v3, v18
	v_cndmask_b32_e32 v43, v10, v3, vcc
	v_fmac_f32_e32 v43, v56, v2
	v_add_f32_e32 v11, v41, v41
	v_sub_f32_e32 v2, v43, v56
	v_div_scale_f32 v3, s[4:5], v11, v11, v2
	v_div_scale_f32 v10, vcc, v2, v11, v2
                                        ; implicit-def: $vgpr42
	v_rcp_f32_e32 v14, v3
	v_fma_f32 v15, -v3, v14, 1.0
	v_fmac_f32_e32 v14, v15, v14
	v_mul_f32_e32 v15, v10, v14
	v_fma_f32 v18, -v3, v15, v10
	v_fmac_f32_e32 v15, v18, v14
	v_fma_f32 v3, -v3, v15, v10
	v_div_fmas_f32 v3, v3, v14, v15
                                        ; implicit-def: $vgpr10
	v_div_fixup_f32 v47, v3, v11, v2
	buffer_load_dword v2, off, s[0:3], s32 offset:324 ; 4-byte Folded Reload
	s_waitcnt vmcnt(0)
	v_cmp_lt_i32_e32 vcc, 0, v2
	s_and_saveexec_b64 s[4:5], vcc
	s_xor_b64 s[4:5], exec, s[4:5]
	s_cbranch_execz .LBB0_124
; %bb.113:
	buffer_load_dword v2, off, s[0:3], s32 offset:324 ; 4-byte Folded Reload
                                        ; implicit-def: $vgpr46
                                        ; implicit-def: $vgpr10
                                        ; implicit-def: $vgpr45
                                        ; implicit-def: $vgpr44
                                        ; implicit-def: $vgpr42
	s_waitcnt vmcnt(0)
	v_cmp_lt_i32_e32 vcc, 1, v2
	s_and_saveexec_b64 s[22:23], vcc
	s_xor_b64 s[22:23], exec, s[22:23]
	s_cbranch_execz .LBB0_121
; %bb.114:
	buffer_load_dword v2, off, s[0:3], s32 offset:324 ; 4-byte Folded Reload
	v_mov_b32_e32 v46, 0
	v_mov_b32_e32 v10, 0
	;; [unrolled: 1-line block ×5, first 2 shown]
	s_waitcnt vmcnt(0)
	v_cmp_eq_u32_e32 vcc, 2, v2
	s_and_saveexec_b64 s[24:25], vcc
	s_cbranch_execz .LBB0_120
; %bb.115:
	s_mov_b32 s26, 0x41a00000
	v_cmp_ngt_f32_e32 vcc, s26, v41
                                        ; implicit-def: $vgpr44
                                        ; implicit-def: $vgpr42
                                        ; implicit-def: $vgpr3
	s_and_saveexec_b64 s[26:27], vcc
	s_xor_b64 s[26:27], exec, s[26:27]
	s_cbranch_execz .LBB0_117
; %bb.116:
	v_mov_b32_e32 v2, 0xbd4d2e47
	v_fmac_f32_e32 v2, 0xba026eca, v41
	v_mov_b32_e32 v3, 0x3fa7ce91
	v_fmac_f32_e32 v3, v41, v2
	v_mov_b32_e32 v2, 0xc196ab4c
	s_mov_b32 s40, 0xc4251610
	v_fmac_f32_e32 v2, v41, v3
	v_div_scale_f32 v3, s[28:29], v41, v41, s40
	v_rcp_f32_e32 v10, v3
	v_fma_f32 v14, -v3, v10, 1.0
	v_fmac_f32_e32 v10, v14, v10
	v_div_scale_f32 v14, vcc, s40, v41, s40
	v_mul_f32_e32 v15, v14, v10
	v_fma_f32 v18, -v3, v15, v14
	v_fmac_f32_e32 v15, v18, v10
	v_fma_f32 v3, -v3, v15, v14
	v_div_fmas_f32 v3, v3, v10, v15
	v_div_fixup_f32 v3, v3, v41, s40
	v_fmac_f32_e32 v3, v41, v2
	v_add_f32_e32 v2, 0x4324ee74, v3
	v_add_f32_e32 v3, 0xbe42ba39, v41
	s_mov_b32 s40, 0x3e42ba39
	v_div_scale_f32 v10, s[28:29], v3, v3, s40
	v_rcp_f32_e32 v14, v10
	v_fma_f32 v15, -v10, v14, 1.0
	v_fmac_f32_e32 v14, v15, v14
	v_div_scale_f32 v15, vcc, s40, v3, s40
	v_mul_f32_e32 v18, v15, v14
	v_fma_f32 v19, -v10, v18, v15
	v_fmac_f32_e32 v18, v19, v14
	v_fma_f32 v10, -v10, v18, v15
	v_div_fmas_f32 v10, v10, v14, v18
	v_div_fixup_f32 v42, v10, v3, s40
	v_fmac_f32_e32 v42, v56, v2
	v_mov_b32_e32 v2, 0xbf047292
	v_fmac_f32_e32 v2, 0xbb92df54, v41
	v_mov_b32_e32 v3, 0x4135e7dc
	;; [unrolled: 2-line block ×3, first 2 shown]
	s_mov_b32 s40, 0xc5c528bb
	v_fmac_f32_e32 v2, v41, v3
	v_div_scale_f32 v3, s[28:29], v41, v41, s40
	v_rcp_f32_e32 v10, v3
	v_fma_f32 v14, -v3, v10, 1.0
	v_fmac_f32_e32 v10, v14, v10
	v_div_scale_f32 v14, vcc, s40, v41, s40
	v_mul_f32_e32 v15, v14, v10
	v_fma_f32 v18, -v3, v15, v14
	v_fmac_f32_e32 v15, v18, v10
	v_fma_f32 v3, -v3, v15, v14
	v_div_fmas_f32 v3, v3, v10, v15
	v_div_fixup_f32 v3, v3, v41, s40
	v_fmac_f32_e32 v3, v41, v2
	v_add_f32_e32 v2, 0x44be4a2a, v3
	v_add_f32_e32 v3, 0xbfe46a42, v41
	s_mov_b32 s40, 0x3fe46a42
	v_div_scale_f32 v10, s[28:29], v3, v3, s40
	v_rcp_f32_e32 v14, v10
	v_fma_f32 v15, -v10, v14, 1.0
	v_fmac_f32_e32 v14, v15, v14
	v_div_scale_f32 v15, vcc, s40, v3, s40
	v_mul_f32_e32 v18, v15, v14
	v_fma_f32 v19, -v10, v18, v15
	v_fmac_f32_e32 v18, v19, v14
	v_fma_f32 v10, -v10, v18, v15
	v_div_fmas_f32 v10, v10, v14, v18
	v_div_fixup_f32 v44, v10, v3, s40
	v_fmac_f32_e32 v44, v56, v2
	v_mov_b32_e32 v2, 0xbfe2ef83
	v_fmac_f32_e32 v2, 0xbc62b400, v41
	v_mov_b32_e32 v3, 0x418ae947
	;; [unrolled: 2-line block ×3, first 2 shown]
	s_mov_b32 s40, 0xc663b5e1
	v_fmac_f32_e32 v2, v41, v3
	v_div_scale_f32 v3, s[28:29], v41, v41, s40
	v_rcp_f32_e32 v10, v3
	v_fma_f32 v14, -v3, v10, 1.0
	v_fmac_f32_e32 v10, v14, v10
	v_div_scale_f32 v14, vcc, s40, v41, s40
	v_mul_f32_e32 v15, v14, v10
	v_fma_f32 v18, -v3, v15, v14
	v_fmac_f32_e32 v15, v18, v10
	v_fma_f32 v3, -v3, v15, v14
	v_div_fmas_f32 v3, v3, v10, v15
	v_div_fixup_f32 v3, v3, v41, s40
	v_fmac_f32_e32 v3, v41, v2
	v_add_f32_e32 v3, 0x4528a517, v3
.LBB0_117:
	s_andn2_saveexec_b64 s[26:27], s[26:27]
	s_cbranch_execz .LBB0_119
; %bb.118:
	v_mov_b32_e32 v2, 0x39bba4b6
	v_fmac_f32_e32 v2, 0xb62341a3, v41
	v_mov_b32_e32 v3, 0xbcbfc8ef
	v_fmac_f32_e32 v3, v41, v2
	;; [unrolled: 2-line block ×4, first 2 shown]
	v_mov_b32_e32 v2, 0x43738477
	s_mov_b32 s40, 0xc69a624f
	v_fmac_f32_e32 v2, v41, v3
	v_div_scale_f32 v3, s[28:29], v41, v41, s40
	v_rcp_f32_e32 v10, v3
	v_fma_f32 v14, -v3, v10, 1.0
	v_fmac_f32_e32 v10, v14, v10
	v_div_scale_f32 v14, vcc, s40, v41, s40
	v_mul_f32_e32 v15, v14, v10
	v_fma_f32 v18, -v3, v15, v14
	v_fmac_f32_e32 v15, v18, v10
	v_fma_f32 v3, -v3, v15, v14
	v_div_fmas_f32 v3, v3, v10, v15
	v_div_fixup_f32 v3, v3, v41, s40
	v_add_f32_e32 v3, 0x461981a8, v3
	v_div_scale_f32 v10, s[28:29], v41, v41, v3
	s_mov_b32 s40, 0x3e42ba39
	v_rcp_f32_e32 v14, v10
	v_fma_f32 v15, -v10, v14, 1.0
	v_fmac_f32_e32 v14, v15, v14
	v_div_scale_f32 v15, vcc, v3, v41, v3
	v_mul_f32_e32 v18, v15, v14
	v_fma_f32 v19, -v10, v18, v15
	v_fmac_f32_e32 v18, v19, v14
	v_fma_f32 v10, -v10, v18, v15
	v_div_fmas_f32 v10, v10, v14, v18
	v_div_fixup_f32 v3, v10, v41, v3
	v_fmac_f32_e32 v3, v41, v2
	v_add_f32_e32 v2, 0xc501fb4f, v3
	v_add_f32_e32 v3, 0xbe42ba39, v41
	v_div_scale_f32 v10, s[28:29], v3, v3, s40
	v_rcp_f32_e32 v14, v10
	v_fma_f32 v15, -v10, v14, 1.0
	v_fmac_f32_e32 v14, v15, v14
	v_div_scale_f32 v15, vcc, s40, v3, s40
	v_mul_f32_e32 v18, v15, v14
	v_fma_f32 v19, -v10, v18, v15
	v_fmac_f32_e32 v18, v19, v14
	v_fma_f32 v10, -v10, v18, v15
	v_div_fmas_f32 v10, v10, v14, v18
	v_div_fixup_f32 v42, v10, v3, s40
	v_fmac_f32_e32 v42, v56, v2
	v_mov_b32_e32 v2, 0x3d0f0702
	v_fmac_f32_e32 v2, 0xb989b133, v41
	v_mov_b32_e32 v3, 0xc045f9e0
	;; [unrolled: 2-line block ×3, first 2 shown]
	s_mov_b32 s40, 0xca32054d
	v_fmac_f32_e32 v10, v41, v3
	v_div_scale_f32 v3, s[28:29], v41, v41, s40
	v_mov_b32_e32 v2, 0xc513e98b
	v_fmac_f32_e32 v2, v41, v10
	v_rcp_f32_e32 v10, v3
	v_fma_f32 v14, -v3, v10, 1.0
	v_fmac_f32_e32 v10, v14, v10
	v_div_scale_f32 v14, vcc, s40, v41, s40
	v_mul_f32_e32 v15, v14, v10
	v_fma_f32 v18, -v3, v15, v14
	v_fmac_f32_e32 v15, v18, v10
	v_fma_f32 v3, -v3, v15, v14
	v_div_fmas_f32 v3, v3, v10, v15
	v_div_fixup_f32 v3, v3, v41, s40
	v_add_f32_e32 v3, 0x49ac46f8, v3
	v_div_scale_f32 v10, s[28:29], v41, v41, v3
	s_mov_b32 s40, 0x3fe46a42
	v_rcp_f32_e32 v14, v10
	v_fma_f32 v15, -v10, v14, 1.0
	v_fmac_f32_e32 v14, v15, v14
	v_div_scale_f32 v15, vcc, v3, v41, v3
	v_mul_f32_e32 v18, v15, v14
	v_fma_f32 v19, -v10, v18, v15
	v_fmac_f32_e32 v18, v19, v14
	v_fma_f32 v10, -v10, v18, v15
	v_div_fmas_f32 v10, v10, v14, v18
	v_div_fixup_f32 v3, v10, v41, v3
	v_add_f32_e32 v3, 0xc88e598b, v3
	v_div_scale_f32 v10, s[28:29], v41, v41, v3
	v_rcp_f32_e32 v14, v10
	v_fma_f32 v15, -v10, v14, 1.0
	v_fmac_f32_e32 v14, v15, v14
	v_div_scale_f32 v15, vcc, v3, v41, v3
	v_mul_f32_e32 v18, v15, v14
	v_fma_f32 v19, -v10, v18, v15
	v_fmac_f32_e32 v18, v19, v14
	v_fma_f32 v10, -v10, v18, v15
	v_div_fmas_f32 v10, v10, v14, v18
	v_div_fixup_f32 v3, v10, v41, v3
	v_fmac_f32_e32 v3, v41, v2
	v_add_f32_e32 v2, 0x4702f04a, v3
	v_add_f32_e32 v3, 0xbfe46a42, v41
	v_div_scale_f32 v10, s[28:29], v3, v3, s40
	v_rcp_f32_e32 v14, v10
	v_fma_f32 v15, -v10, v14, 1.0
	v_fmac_f32_e32 v14, v15, v14
	v_div_scale_f32 v15, vcc, s40, v3, s40
	v_mul_f32_e32 v18, v15, v14
	v_fma_f32 v19, -v10, v18, v15
	v_fmac_f32_e32 v18, v19, v14
	v_fma_f32 v10, -v10, v18, v15
	v_div_fmas_f32 v10, v10, v14, v18
	v_div_fixup_f32 v44, v10, v3, s40
	v_fmac_f32_e32 v44, v56, v2
	v_mov_b32_e32 v2, 0xbceb226e
	v_fmac_f32_e32 v2, 0x38c36ca9, v41
	v_mov_b32_e32 v3, 0xbf4893b3
	;; [unrolled: 2-line block ×3, first 2 shown]
	s_mov_b32 s40, 0xc8396161
	v_fmac_f32_e32 v10, v41, v3
	v_div_scale_f32 v3, s[28:29], v41, v41, s40
	v_mov_b32_e32 v2, 0x43ca7f94
	v_fmac_f32_e32 v2, v41, v10
	v_rcp_f32_e32 v10, v3
	v_fma_f32 v14, -v3, v10, 1.0
	v_fmac_f32_e32 v10, v14, v10
	v_div_scale_f32 v14, vcc, s40, v41, s40
	v_mul_f32_e32 v15, v14, v10
	v_fma_f32 v18, -v3, v15, v14
	v_fmac_f32_e32 v15, v18, v10
	v_fma_f32 v3, -v3, v15, v14
	v_div_fmas_f32 v3, v3, v10, v15
	v_div_fixup_f32 v3, v3, v41, s40
	v_add_f32_e32 v3, 0x4747cdd7, v3
	v_div_scale_f32 v10, s[28:29], v41, v41, v3
	v_rcp_f32_e32 v14, v10
	v_fma_f32 v15, -v10, v14, 1.0
	v_fmac_f32_e32 v14, v15, v14
	v_div_scale_f32 v15, vcc, v3, v41, v3
	v_mul_f32_e32 v18, v15, v14
	v_fma_f32 v19, -v10, v18, v15
	v_fmac_f32_e32 v18, v19, v14
	v_fma_f32 v10, -v10, v18, v15
	v_div_fmas_f32 v10, v10, v14, v18
	v_div_fixup_f32 v3, v10, v41, v3
	v_fmac_f32_e32 v3, v41, v2
	v_add_f32_e32 v3, 0xc5d70baa, v3
.LBB0_119:
	s_or_b64 exec, exec, s[26:27]
	v_fma_f32 v2, 2.0, v47, v47
	v_sub_f32_e32 v2, v2, v56
	v_div_scale_f32 v10, s[26:27], v11, v11, v2
	s_mov_b32 s28, 0x40b0cf9e
	v_rcp_f32_e32 v14, v10
	v_fma_f32 v15, -v10, v14, 1.0
	v_fmac_f32_e32 v14, v15, v14
	v_div_scale_f32 v15, vcc, v2, v11, v2
	v_mul_f32_e32 v18, v15, v14
	v_fma_f32 v19, -v10, v18, v15
	v_fmac_f32_e32 v18, v19, v14
	v_fma_f32 v10, -v10, v18, v15
	v_div_fmas_f32 v10, v10, v14, v18
	v_div_fixup_f32 v2, v10, v11, v2
	v_add_f32_e32 v10, 0xc0b0cf9e, v41
	v_div_scale_f32 v11, s[26:27], v10, v10, s28
	v_rcp_f32_e32 v14, v11
	v_fma_f32 v15, -v11, v14, 1.0
	v_fmac_f32_e32 v14, v15, v14
	v_div_scale_f32 v15, vcc, s28, v10, s28
	v_mul_f32_e32 v18, v15, v14
	v_fma_f32 v19, -v11, v18, v15
	v_fmac_f32_e32 v18, v19, v14
	v_fma_f32 v11, -v11, v18, v15
	v_div_fmas_f32 v11, v11, v14, v18
	v_div_fixup_f32 v45, v11, v10, s28
	v_fmac_f32_e32 v45, v56, v3
	v_add_f32_e32 v3, 1.0, v42
	v_div_scale_f32 v10, s[26:27], v3, v3, v42
	v_rcp_f32_e32 v11, v10
	v_fma_f32 v14, -v10, v11, 1.0
	v_fmac_f32_e32 v11, v14, v11
	v_div_scale_f32 v14, vcc, v42, v3, v42
	v_mul_f32_e32 v15, v14, v11
	v_fma_f32 v18, -v10, v15, v14
	v_fmac_f32_e32 v15, v18, v11
	v_fma_f32 v10, -v10, v15, v14
	v_div_fmas_f32 v10, v10, v11, v15
	v_div_fixup_f32 v3, v10, v3, v42
	v_add_f32_e32 v10, 1.0, v44
	v_div_scale_f32 v11, s[26:27], v10, v10, v44
	v_fma_f32 v2, -v47, v3, v2
	v_rcp_f32_e32 v14, v11
	v_fma_f32 v15, -v11, v14, 1.0
	v_fmac_f32_e32 v14, v15, v14
	v_div_scale_f32 v15, vcc, v44, v10, v44
	v_mul_f32_e32 v18, v15, v14
	v_fma_f32 v19, -v11, v18, v15
	v_fmac_f32_e32 v18, v19, v14
	v_fma_f32 v11, -v11, v18, v15
	v_div_fmas_f32 v11, v11, v14, v18
	v_div_fixup_f32 v10, v11, v10, v44
	v_add_f32_e32 v11, 1.0, v45
	v_div_scale_f32 v14, s[26:27], v11, v11, v45
	v_rcp_f32_e32 v15, v14
	v_fma_f32 v18, -v14, v15, 1.0
	v_fmac_f32_e32 v15, v18, v15
	v_div_scale_f32 v18, vcc, v45, v11, v45
	v_mul_f32_e32 v19, v18, v15
	v_fma_f32 v41, -v14, v19, v18
	v_fmac_f32_e32 v19, v41, v15
	v_fma_f32 v14, -v14, v19, v18
	v_div_fmas_f32 v14, v14, v15, v19
	v_div_fixup_f32 v11, v14, v11, v45
	v_fma_f32 v14, -v43, v3, v47
	v_sub_f32_e32 v18, v11, v10
	v_sub_f32_e32 v19, v11, v3
	v_fma_f32 v15, -v10, v14, v2
	v_mul_f32_e32 v19, v18, v19
	v_div_scale_f32 v41, s[26:27], v19, v19, v15
	v_sub_f32_e32 v3, v10, v3
	v_fma_f32 v2, v11, v14, -v2
	v_mul_f32_e32 v3, v3, v18
	v_div_scale_f32 v10, s[26:27], v3, v3, v2
	v_rcp_f32_e32 v46, v41
	v_fma_f32 v47, -v41, v46, 1.0
	v_fmac_f32_e32 v46, v47, v46
	v_div_scale_f32 v47, vcc, v15, v19, v15
	v_rcp_f32_e32 v11, v10
	v_fma_f32 v14, -v10, v11, 1.0
	v_fmac_f32_e32 v11, v14, v11
	v_mul_f32_e32 v56, v47, v46
	v_fma_f32 v57, -v41, v56, v47
	v_fmac_f32_e32 v56, v57, v46
	v_fma_f32 v41, -v41, v56, v47
	v_div_fmas_f32 v41, v41, v46, v56
	v_div_scale_f32 v14, vcc, v2, v3, v2
	v_div_fixup_f32 v46, v41, v19, v15
	v_mul_f32_e32 v15, v14, v11
	v_fma_f32 v18, -v10, v15, v14
	v_fmac_f32_e32 v15, v18, v11
	v_fma_f32 v10, -v10, v15, v14
	v_div_fmas_f32 v10, v10, v11, v15
	v_div_fixup_f32 v10, v10, v3, v2
	v_sub_f32_e32 v2, v43, v10
	v_sub_f32_e32 v43, v2, v46
.LBB0_120:
	s_or_b64 exec, exec, s[24:25]
                                        ; implicit-def: $vgpr41
                                        ; implicit-def: $vgpr56
                                        ; implicit-def: $vgpr47
.LBB0_121:
	s_andn2_saveexec_b64 s[22:23], s[22:23]
	s_cbranch_execz .LBB0_123
; %bb.122:
	v_mov_b32_e32 v2, 0x39388d8e
	v_fmac_f32_e32 v2, 0xb59a3989, v41
	v_mov_b32_e32 v3, 0xbc8ce3aa
	v_fmac_f32_e32 v3, v41, v2
	v_mov_b32_e32 v2, 0xbe0c9671
	s_mov_b32 s26, 0xc23e4bfd
	v_fmac_f32_e32 v2, v41, v3
	v_div_scale_f32 v3, s[24:25], v41, v41, s26
	v_mov_b32_e32 v46, 0
	v_mov_b32_e32 v45, 0
	v_rcp_f32_e32 v10, v3
	v_fma_f32 v11, -v3, v10, 1.0
	v_fmac_f32_e32 v10, v11, v10
	v_div_scale_f32 v11, vcc, s26, v41, s26
	v_mul_f32_e32 v14, v11, v10
	v_fma_f32 v15, -v3, v14, v11
	v_fmac_f32_e32 v14, v15, v10
	v_fma_f32 v3, -v3, v14, v11
	v_div_fmas_f32 v3, v3, v10, v14
	v_div_fixup_f32 v3, v3, v41, s26
	v_add_f32_e32 v3, 0x41135c5f, v3
	v_div_scale_f32 v10, s[24:25], v41, v41, v3
	s_mov_b32 s26, 0x3e8cee3d
	v_rcp_f32_e32 v11, v10
	v_fma_f32 v14, -v10, v11, 1.0
	v_fmac_f32_e32 v11, v14, v11
	v_div_scale_f32 v14, vcc, v3, v41, v3
	v_mul_f32_e32 v15, v14, v11
	v_fma_f32 v18, -v10, v15, v14
	v_fmac_f32_e32 v15, v18, v11
	v_fma_f32 v10, -v10, v15, v14
	v_div_fmas_f32 v10, v10, v11, v15
	v_div_fixup_f32 v3, v10, v41, v3
	v_fmac_f32_e32 v3, v41, v2
	v_add_f32_e32 v2, 0xbcbd4d2c, v3
	v_add_f32_e32 v3, 0xbe8cee3d, v41
	v_div_scale_f32 v10, s[24:25], v3, v3, s26
	v_rcp_f32_e32 v11, v10
	v_fma_f32 v14, -v10, v11, 1.0
	v_fmac_f32_e32 v11, v14, v11
	v_div_scale_f32 v14, vcc, s26, v3, s26
	v_mul_f32_e32 v15, v14, v11
	v_fma_f32 v18, -v10, v15, v14
	v_fmac_f32_e32 v15, v18, v11
	v_fma_f32 v10, -v10, v15, v14
	v_div_fmas_f32 v10, v10, v11, v15
	v_div_fixup_f32 v42, v10, v3, s26
	v_mov_b32_e32 v3, 0xbdc708fb
	v_fmac_f32_e32 v42, v56, v2
	v_fmac_f32_e32 v3, 0x39bf52f4, v41
	v_mov_b32_e32 v2, 0xc080ec6f
	s_mov_b32 s26, 0xc307d4bd
	v_fmac_f32_e32 v2, v41, v3
	v_div_scale_f32 v3, s[24:25], v41, v41, s26
	v_rcp_f32_e32 v10, v3
	v_fma_f32 v11, -v3, v10, 1.0
	v_fmac_f32_e32 v10, v11, v10
	v_div_scale_f32 v11, vcc, s26, v41, s26
	v_mul_f32_e32 v14, v11, v10
	v_fma_f32 v15, -v3, v14, v11
	v_fmac_f32_e32 v14, v15, v10
	v_fma_f32 v3, -v3, v14, v11
	v_div_fmas_f32 v3, v3, v10, v14
	v_div_fixup_f32 v3, v3, v41, s26
	v_add_f32_e32 v3, 0xc2ad60db, v3
	v_div_scale_f32 v10, s[24:25], v41, v41, v3
	s_mov_b32 s26, 0x402e6238
	v_rcp_f32_e32 v11, v10
	v_fma_f32 v14, -v10, v11, 1.0
	v_fmac_f32_e32 v11, v14, v11
	v_div_scale_f32 v14, vcc, v3, v41, v3
	v_mul_f32_e32 v15, v14, v11
	v_fma_f32 v18, -v10, v15, v14
	v_fmac_f32_e32 v15, v18, v11
	v_fma_f32 v10, -v10, v15, v14
	v_div_fmas_f32 v10, v10, v11, v15
	v_div_fixup_f32 v3, v10, v41, v3
	v_fmac_f32_e32 v3, v41, v2
	v_add_f32_e32 v2, 0x403eba2b, v3
	v_add_f32_e32 v3, 0xc02e6238, v41
	v_div_scale_f32 v10, s[24:25], v3, v3, s26
	v_rcp_f32_e32 v11, v10
	v_fma_f32 v14, -v10, v11, 1.0
	v_fmac_f32_e32 v11, v14, v11
	v_div_scale_f32 v14, vcc, s26, v3, s26
	v_mul_f32_e32 v15, v14, v11
	v_fma_f32 v18, -v10, v15, v14
	v_fmac_f32_e32 v15, v18, v11
	v_fma_f32 v10, -v10, v15, v14
	v_div_fmas_f32 v10, v10, v11, v15
	v_div_fixup_f32 v44, v10, v3, s26
	v_fmac_f32_e32 v44, v56, v2
	v_sub_f32_e32 v2, v47, v43
	v_fmac_f32_e32 v47, v2, v42
	v_add_f32_e32 v2, 1.0, v44
	v_mul_f32_e32 v2, v2, v47
	v_sub_f32_e32 v3, v44, v42
	v_div_scale_f32 v10, s[24:25], v3, v3, v2
	v_rcp_f32_e32 v11, v10
	v_fma_f32 v14, -v10, v11, 1.0
	v_fmac_f32_e32 v11, v14, v11
	v_div_scale_f32 v14, vcc, v2, v3, v2
	v_mul_f32_e32 v15, v14, v11
	v_fma_f32 v18, -v10, v15, v14
	v_fmac_f32_e32 v15, v18, v11
	v_fma_f32 v10, -v10, v15, v14
	v_div_fmas_f32 v10, v10, v11, v15
	v_div_fixup_f32 v10, v10, v3, v2
	v_sub_f32_e32 v43, v43, v10
.LBB0_123:
	s_or_b64 exec, exec, s[22:23]
                                        ; implicit-def: $vgpr47
.LBB0_124:
	s_andn2_saveexec_b64 s[4:5], s[4:5]
	s_cbranch_execz .LBB0_128
; %bb.125:
	buffer_load_dword v2, off, s[0:3], s32 offset:324 ; 4-byte Folded Reload
	v_mov_b32_e32 v46, 0
	v_mov_b32_e32 v42, 0
	s_waitcnt vmcnt(0)
	v_cmp_eq_u32_e32 vcc, 0, v2
	s_and_saveexec_b64 s[22:23], vcc
	s_cbranch_execz .LBB0_127
; %bb.126:
	v_sub_f32_e32 v2, v43, v47
	v_div_scale_f32 v3, s[24:25], v2, v2, v47
	v_div_scale_f32 v10, vcc, v47, v2, v47
	v_rcp_f32_e32 v11, v3
	v_fma_f32 v14, -v3, v11, 1.0
	v_fmac_f32_e32 v11, v14, v11
	v_mul_f32_e32 v14, v10, v11
	v_fma_f32 v15, -v3, v14, v10
	v_fmac_f32_e32 v14, v15, v11
	v_fma_f32 v3, -v3, v14, v10
	v_div_fmas_f32 v3, v3, v11, v14
	v_div_fixup_f32 v42, v3, v2, v47
.LBB0_127:
	s_or_b64 exec, exec, s[22:23]
	v_mov_b32_e32 v10, 0
	v_mov_b32_e32 v45, 0
	;; [unrolled: 1-line block ×3, first 2 shown]
.LBB0_128:
	s_or_b64 exec, exec, s[4:5]
.LBB0_129:
	s_or_b64 exec, exec, s[6:7]
                                        ; implicit-def: $vgpr41
.LBB0_130:
	s_andn2_saveexec_b64 s[6:7], s[20:21]
	s_cbranch_execz .LBB0_144
; %bb.131:
	s_mov_b32 s20, 0xbe405aee
	v_div_scale_f32 v2, s[4:5], v41, v41, s20
	v_div_scale_f32 v3, vcc, s20, v41, s20
	s_mov_b32 s22, 0x3f490fdb
	v_mul_f32_e32 v18, 0xbfb8aa3b, v41
                                        ; implicit-def: $vgpr46
                                        ; implicit-def: $vgpr45
                                        ; implicit-def: $vgpr44
	v_rcp_f32_e32 v10, v2
	v_fma_f32 v11, -v2, v10, 1.0
	v_fmac_f32_e32 v10, v11, v10
	v_mul_f32_e32 v11, v3, v10
	v_fma_f32 v14, -v2, v11, v3
	v_fmac_f32_e32 v11, v14, v10
	v_fma_f32 v2, -v2, v11, v3
	v_div_fmas_f32 v2, v2, v10, v11
	v_div_fixup_f32 v2, v2, v41, s20
	v_add_f32_e32 v2, 0x3e6b6fc1, v2
	v_div_scale_f32 v3, s[4:5], v41, v41, v2
	v_div_scale_f32 v10, vcc, v2, v41, v2
	v_rcp_f32_e32 v11, v3
	v_fma_f32 v14, -v3, v11, 1.0
	v_fmac_f32_e32 v11, v14, v11
	v_mul_f32_e32 v14, v10, v11
	v_fma_f32 v15, -v3, v14, v10
	v_fmac_f32_e32 v14, v15, v11
	v_fma_f32 v3, -v3, v14, v10
	v_div_fmas_f32 v3, v3, v11, v14
	v_div_scale_f32 v10, s[4:5], v41, v41, s22
	v_div_scale_f32 v11, s[4:5], s22, v41, s22
	v_div_fixup_f32 v2, v3, v41, v2
	v_add_f32_e32 v3, 0xbeff74bd, v2
	v_div_scale_f32 v2, s[20:21], v41, v41, v3
	v_div_scale_f32 v14, vcc, v3, v41, v3
	v_rcp_f32_e32 v15, v10
	s_mov_b32 s20, 0xbfb8aa3b
	s_mov_b32 s21, 0x42ce8ed0
	v_fma_f32 v19, -v10, v15, 1.0
	v_fmac_f32_e32 v15, v19, v15
	v_mul_f32_e32 v19, v11, v15
	v_fma_f32 v43, -v10, v19, v11
	v_fmac_f32_e32 v19, v43, v15
	v_fma_f32 v10, -v10, v19, v11
	v_rcp_f32_e32 v42, v2
	v_fma_f32 v11, -v2, v42, 1.0
	v_fmac_f32_e32 v42, v11, v42
	v_mul_f32_e32 v11, v14, v42
	v_fma_f32 v43, -v2, v11, v14
	v_fmac_f32_e32 v11, v43, v42
	v_fma_f32 v2, -v2, v11, v14
	v_div_fmas_f32 v11, v2, v42, v11
	s_mov_b64 vcc, s[4:5]
	v_div_fmas_f32 v10, v10, v15, v19
	v_rndne_f32_e32 v2, v18
	v_fma_f32 v15, v41, s20, -v18
	v_sub_f32_e32 v18, v18, v2
	v_fmac_f32_e32 v15, 0xb2a5705f, v41
	v_cvt_i32_f32_e32 v19, v2
	v_add_f32_e32 v2, v18, v15
	v_exp_f32_e32 v15, v2
	s_mov_b32 s5, 0xf800000
	v_cmp_nlt_f32_e32 vcc, s21, v41
	s_mov_b32 s4, 0xc2b17218
	v_ldexp_f32 v15, v15, v19
	v_cndmask_b32_e32 v15, 0, v15, vcc
	v_mov_b32_e32 v14, 0x7f800000
	v_div_fixup_f32 v3, v11, v41, v3
	v_mov_b32_e32 v18, 0x260
	v_div_fixup_f32 v10, v10, v41, s22
	v_mul_f32_e32 v19, 0x4f800000, v10
	v_cmp_gt_f32_e32 vcc, s5, v10
	v_cndmask_b32_e32 v10, v10, v19, vcc
	v_sqrt_f32_e32 v19, v10
	v_cmp_ngt_f32_e64 s[4:5], s4, v41
	v_cndmask_b32_e64 v47, v14, v15, s[4:5]
	v_add_f32_e32 v3, 0xb7b7d95a, v3
	v_add_u32_e32 v11, -1, v19
	v_add_u32_e32 v14, 1, v19
	v_fma_f32 v15, -v11, v19, v10
	v_fma_f32 v42, -v14, v19, v10
	v_cmp_ge_f32_e64 s[4:5], 0, v15
	v_cndmask_b32_e64 v11, v19, v11, s[4:5]
	v_cmp_lt_f32_e64 s[4:5], 0, v42
	v_cndmask_b32_e64 v11, v11, v14, s[4:5]
	v_mul_f32_e32 v14, 0x37800000, v11
	v_cndmask_b32_e32 v11, v11, v14, vcc
	v_cmp_class_f32_e32 vcc, v10, v18
	v_cndmask_b32_e32 v43, v11, v10, vcc
	v_fmac_f32_e32 v43, v47, v3
	v_add_f32_e32 v2, v41, v41
	v_sub_f32_e32 v3, v43, v47
	v_div_scale_f32 v10, s[4:5], v2, v2, v3
	v_div_scale_f32 v11, vcc, v3, v2, v3
                                        ; implicit-def: $vgpr42
	v_rcp_f32_e32 v14, v10
	v_fma_f32 v15, -v10, v14, 1.0
	v_fmac_f32_e32 v14, v15, v14
	v_mul_f32_e32 v15, v11, v14
	v_fma_f32 v18, -v10, v15, v11
	v_fmac_f32_e32 v15, v18, v14
	v_fma_f32 v10, -v10, v15, v11
	v_div_fmas_f32 v10, v10, v14, v15
	v_div_fixup_f32 v11, v10, v2, v3
	buffer_load_dword v3, off, s[0:3], s32 offset:324 ; 4-byte Folded Reload
                                        ; implicit-def: $vgpr10
	s_waitcnt vmcnt(0)
	v_cmp_lt_i32_e32 vcc, 0, v3
	s_and_saveexec_b64 s[4:5], vcc
	s_xor_b64 s[4:5], exec, s[4:5]
	s_cbranch_execz .LBB0_139
; %bb.132:
	buffer_load_dword v3, off, s[0:3], s32 offset:324 ; 4-byte Folded Reload
                                        ; implicit-def: $vgpr46
                                        ; implicit-def: $vgpr10
                                        ; implicit-def: $vgpr45
                                        ; implicit-def: $vgpr44
                                        ; implicit-def: $vgpr42
	s_waitcnt vmcnt(0)
	v_cmp_lt_i32_e32 vcc, 1, v3
	s_and_saveexec_b64 s[20:21], vcc
	s_xor_b64 s[20:21], exec, s[20:21]
	s_cbranch_execz .LBB0_136
; %bb.133:
	buffer_load_dword v3, off, s[0:3], s32 offset:324 ; 4-byte Folded Reload
	v_mov_b32_e32 v46, 0
	v_mov_b32_e32 v10, 0
	;; [unrolled: 1-line block ×5, first 2 shown]
	s_waitcnt vmcnt(0)
	v_cmp_eq_u32_e32 vcc, 2, v3
	s_and_saveexec_b64 s[22:23], vcc
	s_cbranch_execz .LBB0_135
; %bb.134:
	v_fma_f32 v3, 2.0, v11, v11
	v_sub_f32_e32 v3, v3, v47
	v_div_scale_f32 v10, s[24:25], v2, v2, v3
	v_mov_b32_e32 v42, 0x3c7b638c
	v_mov_b32_e32 v44, 0x3e290a2d
	;; [unrolled: 1-line block ×3, first 2 shown]
	v_rcp_f32_e32 v14, v10
	v_fma_f32 v15, -v10, v14, 1.0
	v_fmac_f32_e32 v14, v15, v14
	v_div_scale_f32 v15, vcc, v3, v2, v3
	v_mul_f32_e32 v18, v15, v14
	v_fma_f32 v19, -v10, v18, v15
	v_fmac_f32_e32 v18, v19, v14
	v_fma_f32 v10, -v10, v18, v15
	v_div_fmas_f32 v10, v10, v14, v18
	v_mov_b32_e32 v14, 0xa937ed9d
	v_div_fixup_f32 v2, v10, v2, v3
	v_add_f32_e32 v3, 0xc1480000, v41
	v_mov_b32_e32 v10, 0xa747bc7d
	v_fmac_f32_e32 v10, 0x25fedf51, v3
	v_fmac_f32_e32 v14, v3, v10
	v_mov_b32_e32 v10, 0x2b176e28
	v_fmac_f32_e32 v10, v3, v14
	v_mov_b32_e32 v14, 0x2c0470c6
	;; [unrolled: 2-line block ×9, first 2 shown]
	v_fmac_f32_e32 v10, v3, v14
	v_fmac_f32_e32 v42, v3, v10
	v_mov_b32_e32 v10, 0xa8430508
	v_fmac_f32_e32 v10, 0x27f6d9a2, v3
	v_mov_b32_e32 v14, 0xab717b68
	;; [unrolled: 2-line block ×11, first 2 shown]
	v_fmac_f32_e32 v10, v3, v14
	v_fmac_f32_e32 v44, v3, v10
	v_mov_b32_e32 v10, 0xa8f64f4f
	v_fmac_f32_e32 v10, 0x27670864, v3
	v_mov_b32_e32 v14, 0xaab1bb1a
	;; [unrolled: 2-line block ×12, first 2 shown]
	v_fmac_f32_e32 v14, v3, v10
	v_fmac_f32_e32 v45, v3, v14
	v_add_f32_e32 v3, 1.0, v42
	v_div_scale_f32 v10, s[24:25], v3, v3, v42
	v_rcp_f32_e32 v14, v10
	v_fma_f32 v15, -v10, v14, 1.0
	v_fmac_f32_e32 v14, v15, v14
	v_div_scale_f32 v15, vcc, v42, v3, v42
	v_mul_f32_e32 v18, v15, v14
	v_fma_f32 v19, -v10, v18, v15
	v_fmac_f32_e32 v18, v19, v14
	v_fma_f32 v10, -v10, v18, v15
	v_div_fmas_f32 v10, v10, v14, v18
	v_div_fixup_f32 v3, v10, v3, v42
	v_add_f32_e32 v10, 1.0, v44
	v_div_scale_f32 v14, s[24:25], v10, v10, v44
	v_fma_f32 v2, -v11, v3, v2
	v_fma_f32 v11, -v43, v3, v11
	v_rcp_f32_e32 v15, v14
	v_fma_f32 v18, -v14, v15, 1.0
	v_fmac_f32_e32 v15, v18, v15
	v_div_scale_f32 v18, vcc, v44, v10, v44
	v_mul_f32_e32 v19, v18, v15
	v_fma_f32 v41, -v14, v19, v18
	v_fmac_f32_e32 v19, v41, v15
	v_fma_f32 v14, -v14, v19, v18
	v_div_fmas_f32 v14, v14, v15, v19
	v_div_fixup_f32 v10, v14, v10, v44
	v_add_f32_e32 v14, 1.0, v45
	v_div_scale_f32 v15, s[24:25], v14, v14, v45
	v_rcp_f32_e32 v18, v15
	v_fma_f32 v19, -v15, v18, 1.0
	v_fmac_f32_e32 v18, v19, v18
	v_div_scale_f32 v19, vcc, v45, v14, v45
	v_mul_f32_e32 v41, v19, v18
	v_fma_f32 v46, -v15, v41, v19
	v_fmac_f32_e32 v41, v46, v18
	v_fma_f32 v15, -v15, v41, v19
	v_div_fmas_f32 v15, v15, v18, v41
	v_div_fixup_f32 v14, v15, v14, v45
	v_sub_f32_e32 v18, v14, v10
	v_sub_f32_e32 v19, v14, v3
	v_fma_f32 v15, -v10, v11, v2
	v_mul_f32_e32 v19, v18, v19
	v_div_scale_f32 v41, s[24:25], v19, v19, v15
	v_sub_f32_e32 v3, v10, v3
	v_fma_f32 v2, v14, v11, -v2
	v_mul_f32_e32 v3, v3, v18
	v_div_scale_f32 v10, s[24:25], v3, v3, v2
	v_rcp_f32_e32 v46, v41
	v_fma_f32 v47, -v41, v46, 1.0
	v_fmac_f32_e32 v46, v47, v46
	v_div_scale_f32 v47, vcc, v15, v19, v15
	v_rcp_f32_e32 v11, v10
	v_fma_f32 v14, -v10, v11, 1.0
	v_fmac_f32_e32 v11, v14, v11
	v_mul_f32_e32 v56, v47, v46
	v_fma_f32 v57, -v41, v56, v47
	v_fmac_f32_e32 v56, v57, v46
	v_fma_f32 v41, -v41, v56, v47
	v_div_fmas_f32 v41, v41, v46, v56
	v_div_scale_f32 v14, vcc, v2, v3, v2
	v_div_fixup_f32 v46, v41, v19, v15
	v_mul_f32_e32 v15, v14, v11
	v_fma_f32 v18, -v10, v15, v14
	v_fmac_f32_e32 v15, v18, v11
	v_fma_f32 v10, -v10, v15, v14
	v_div_fmas_f32 v10, v10, v11, v15
	v_div_fixup_f32 v10, v10, v3, v2
	v_sub_f32_e32 v2, v43, v10
	v_sub_f32_e32 v43, v2, v46
.LBB0_135:
	s_or_b64 exec, exec, s[22:23]
                                        ; implicit-def: $vgpr41
                                        ; implicit-def: $vgpr47
                                        ; implicit-def: $vgpr11
.LBB0_136:
	s_andn2_saveexec_b64 s[20:21], s[20:21]
	s_cbranch_execz .LBB0_138
; %bb.137:
	v_mov_b32_e32 v2, 0x3a9c9bdc
	v_fmac_f32_e32 v2, 0xb72984d9, v41
	v_mov_b32_e32 v3, 0xbd89fc71
	v_fmac_f32_e32 v3, v41, v2
	v_mov_b32_e32 v2, 0x3fa0e734
	s_mov_b32 s24, 0xc6060060
	v_fmac_f32_e32 v2, v41, v3
	v_div_scale_f32 v3, s[22:23], v41, v41, s24
	v_mov_b32_e32 v46, 0
	v_mov_b32_e32 v45, 0
	v_rcp_f32_e32 v10, v3
	v_fma_f32 v14, -v3, v10, 1.0
	v_fmac_f32_e32 v10, v14, v10
	v_div_scale_f32 v14, vcc, s24, v41, s24
	v_mul_f32_e32 v15, v14, v10
	v_fma_f32 v18, -v3, v15, v14
	v_fmac_f32_e32 v15, v18, v10
	v_fma_f32 v3, -v3, v15, v14
	v_div_fmas_f32 v3, v3, v10, v15
	v_div_fixup_f32 v3, v3, v41, s24
	v_add_f32_e32 v3, 0x45b8b07a, v3
	v_div_scale_f32 v10, s[22:23], v41, v41, v3
	s_mov_b32 s24, 0x3e8cee3d
	v_rcp_f32_e32 v14, v10
	v_fma_f32 v15, -v10, v14, 1.0
	v_fmac_f32_e32 v14, v15, v14
	v_div_scale_f32 v15, vcc, v3, v41, v3
	v_mul_f32_e32 v18, v15, v14
	v_fma_f32 v19, -v10, v18, v15
	v_fmac_f32_e32 v18, v19, v14
	v_fma_f32 v10, -v10, v18, v15
	v_div_fmas_f32 v10, v10, v14, v18
	v_div_fixup_f32 v3, v10, v41, v3
	v_add_f32_e32 v3, 0xc4d58275, v3
	v_div_scale_f32 v10, s[22:23], v41, v41, v3
	v_rcp_f32_e32 v14, v10
	v_fma_f32 v15, -v10, v14, 1.0
	v_fmac_f32_e32 v14, v15, v14
	v_div_scale_f32 v15, vcc, v3, v41, v3
	v_mul_f32_e32 v18, v15, v14
	v_fma_f32 v19, -v10, v18, v15
	v_fmac_f32_e32 v18, v19, v14
	v_fma_f32 v10, -v10, v18, v15
	v_div_fmas_f32 v10, v10, v14, v18
	v_div_fixup_f32 v3, v10, v41, v3
	v_add_f32_e32 v3, 0x438444b2, v3
	v_div_scale_f32 v10, s[22:23], v41, v41, v3
	v_rcp_f32_e32 v14, v10
	v_fma_f32 v15, -v10, v14, 1.0
	v_fmac_f32_e32 v14, v15, v14
	v_div_scale_f32 v15, vcc, v3, v41, v3
	v_mul_f32_e32 v18, v15, v14
	v_fma_f32 v19, -v10, v18, v15
	v_fmac_f32_e32 v18, v19, v14
	v_fma_f32 v10, -v10, v18, v15
	v_div_fmas_f32 v10, v10, v14, v18
	v_div_fixup_f32 v3, v10, v41, v3
	v_fmac_f32_e32 v3, v41, v2
	v_add_f32_e32 v2, 0xc1bedb3d, v3
	v_add_f32_e32 v3, 0xbe8cee3d, v41
	v_div_scale_f32 v10, s[22:23], v3, v3, s24
	v_rcp_f32_e32 v14, v10
	v_fma_f32 v15, -v10, v14, 1.0
	v_fmac_f32_e32 v14, v15, v14
	v_div_scale_f32 v15, vcc, s24, v3, s24
	v_mul_f32_e32 v18, v15, v14
	v_fma_f32 v19, -v10, v18, v15
	v_fmac_f32_e32 v18, v19, v14
	v_fma_f32 v10, -v10, v18, v15
	v_div_fmas_f32 v10, v10, v14, v18
	v_div_fixup_f32 v42, v10, v3, s24
	v_mov_b32_e32 v3, 0xbdbf7bb1
	v_fmac_f32_e32 v42, v47, v2
	v_fmac_f32_e32 v3, 0x39b1bf10, v41
	v_mov_b32_e32 v2, 0xc0871bf9
	s_mov_b32 s24, 0xc5024921
	v_fmac_f32_e32 v2, v41, v3
	v_div_scale_f32 v3, s[22:23], v41, v41, s24
	v_rcp_f32_e32 v10, v3
	v_fma_f32 v14, -v3, v10, 1.0
	v_fmac_f32_e32 v10, v14, v10
	v_div_scale_f32 v14, vcc, s24, v41, s24
	v_mul_f32_e32 v15, v14, v10
	v_fma_f32 v18, -v3, v15, v14
	v_fmac_f32_e32 v15, v18, v10
	v_fma_f32 v3, -v3, v15, v14
	v_div_fmas_f32 v3, v3, v10, v15
	v_div_fixup_f32 v3, v3, v41, s24
	v_add_f32_e32 v3, 0xc4833fb4, v3
	v_div_scale_f32 v10, s[22:23], v41, v41, v3
	s_mov_b32 s24, 0x402e6238
	v_rcp_f32_e32 v14, v10
	v_fma_f32 v15, -v10, v14, 1.0
	v_fmac_f32_e32 v14, v15, v14
	v_div_scale_f32 v15, vcc, v3, v41, v3
	v_mul_f32_e32 v18, v15, v14
	v_fma_f32 v19, -v10, v18, v15
	v_fmac_f32_e32 v18, v19, v14
	v_fma_f32 v10, -v10, v18, v15
	v_div_fmas_f32 v10, v10, v14, v18
	v_div_fixup_f32 v3, v10, v41, v3
	v_add_f32_e32 v3, 0x43a9f21d, v3
	v_div_scale_f32 v10, s[22:23], v41, v41, v3
	v_rcp_f32_e32 v14, v10
	v_fma_f32 v15, -v10, v14, 1.0
	v_fmac_f32_e32 v14, v15, v14
	v_div_scale_f32 v15, vcc, v3, v41, v3
	v_mul_f32_e32 v18, v15, v14
	v_fma_f32 v19, -v10, v18, v15
	v_fmac_f32_e32 v18, v19, v14
	v_fma_f32 v10, -v10, v18, v15
	v_div_fmas_f32 v10, v10, v14, v18
	v_div_fixup_f32 v3, v10, v41, v3
	v_add_f32_e32 v3, 0xc31c2f4f, v3
	v_div_scale_f32 v10, s[22:23], v41, v41, v3
	v_rcp_f32_e32 v14, v10
	v_fma_f32 v15, -v10, v14, 1.0
	v_fmac_f32_e32 v14, v15, v14
	v_div_scale_f32 v15, vcc, v3, v41, v3
	v_mul_f32_e32 v18, v15, v14
	v_fma_f32 v19, -v10, v18, v15
	v_fmac_f32_e32 v18, v19, v14
	v_fma_f32 v10, -v10, v18, v15
	v_div_fmas_f32 v10, v10, v14, v18
	v_div_fixup_f32 v3, v10, v41, v3
	v_fmac_f32_e32 v3, v41, v2
	v_add_f32_e32 v2, 0x4100225e, v3
	v_add_f32_e32 v3, 0xc02e6238, v41
	v_div_scale_f32 v10, s[22:23], v3, v3, s24
	v_rcp_f32_e32 v14, v10
	v_fma_f32 v15, -v10, v14, 1.0
	v_fmac_f32_e32 v14, v15, v14
	v_div_scale_f32 v15, vcc, s24, v3, s24
	v_mul_f32_e32 v18, v15, v14
	v_fma_f32 v19, -v10, v18, v15
	v_fmac_f32_e32 v18, v19, v14
	v_fma_f32 v10, -v10, v18, v15
	v_div_fmas_f32 v10, v10, v14, v18
	v_div_fixup_f32 v44, v10, v3, s24
	v_fmac_f32_e32 v44, v47, v2
	v_sub_f32_e32 v2, v11, v43
	v_fmac_f32_e32 v11, v2, v42
	v_add_f32_e32 v2, 1.0, v44
	v_mul_f32_e32 v2, v2, v11
	v_sub_f32_e32 v3, v44, v42
	v_div_scale_f32 v10, s[22:23], v3, v3, v2
	v_rcp_f32_e32 v11, v10
	v_fma_f32 v14, -v10, v11, 1.0
	v_fmac_f32_e32 v11, v14, v11
	v_div_scale_f32 v14, vcc, v2, v3, v2
	v_mul_f32_e32 v15, v14, v11
	v_fma_f32 v18, -v10, v15, v14
	v_fmac_f32_e32 v15, v18, v11
	v_fma_f32 v10, -v10, v15, v14
	v_div_fmas_f32 v10, v10, v11, v15
	v_div_fixup_f32 v10, v10, v3, v2
	v_sub_f32_e32 v43, v43, v10
.LBB0_138:
	s_or_b64 exec, exec, s[20:21]
                                        ; implicit-def: $vgpr11
.LBB0_139:
	s_andn2_saveexec_b64 s[4:5], s[4:5]
	s_cbranch_execz .LBB0_143
; %bb.140:
	buffer_load_dword v2, off, s[0:3], s32 offset:324 ; 4-byte Folded Reload
	v_mov_b32_e32 v46, 0
	v_mov_b32_e32 v42, 0
	s_waitcnt vmcnt(0)
	v_cmp_eq_u32_e32 vcc, 0, v2
	s_and_saveexec_b64 s[20:21], vcc
	s_cbranch_execz .LBB0_142
; %bb.141:
	v_sub_f32_e32 v2, v43, v11
	v_div_scale_f32 v3, s[22:23], v2, v2, v11
	v_div_scale_f32 v10, vcc, v11, v2, v11
	v_rcp_f32_e32 v14, v3
	v_fma_f32 v15, -v3, v14, 1.0
	v_fmac_f32_e32 v14, v15, v14
	v_mul_f32_e32 v15, v10, v14
	v_fma_f32 v18, -v3, v15, v10
	v_fmac_f32_e32 v15, v18, v14
	v_fma_f32 v3, -v3, v15, v10
	v_div_fmas_f32 v3, v3, v14, v15
	v_div_fixup_f32 v42, v3, v2, v11
.LBB0_142:
	s_or_b64 exec, exec, s[20:21]
	v_mov_b32_e32 v10, 0
	v_mov_b32_e32 v45, 0
	;; [unrolled: 1-line block ×3, first 2 shown]
.LBB0_143:
	s_or_b64 exec, exec, s[4:5]
.LBB0_144:
	s_or_b64 exec, exec, s[6:7]
                                        ; implicit-def: $vgpr41
.LBB0_145:
	s_andn2_saveexec_b64 s[6:7], s[18:19]
	s_cbranch_execz .LBB0_159
; %bb.146:
	s_mov_b32 s18, 0x3ef01d82
	v_div_scale_f32 v2, s[4:5], v41, v41, s18
	v_div_scale_f32 v3, vcc, s18, v41, s18
	s_mov_b32 s20, 0x3f490fdb
	buffer_load_dword v9, off, s[0:3], s32 offset:324 ; 4-byte Folded Reload
	v_mul_f32_e32 v18, 0xbfb8aa3b, v41
                                        ; implicit-def: $vgpr46
                                        ; implicit-def: $vgpr45
                                        ; implicit-def: $vgpr44
	v_rcp_f32_e32 v10, v2
	v_fma_f32 v11, -v2, v10, 1.0
	v_fmac_f32_e32 v10, v11, v10
	v_mul_f32_e32 v11, v3, v10
	v_fma_f32 v14, -v2, v11, v3
	v_fmac_f32_e32 v11, v14, v10
	v_fma_f32 v2, -v2, v11, v3
	v_div_fmas_f32 v2, v2, v10, v11
	v_div_fixup_f32 v2, v2, v41, s18
	v_add_f32_e32 v2, 0xbf33161b, v2
	v_div_scale_f32 v3, s[4:5], v41, v41, v2
	v_div_scale_f32 v10, vcc, v2, v41, v2
	v_rcp_f32_e32 v11, v3
	v_fma_f32 v14, -v3, v11, 1.0
	v_fmac_f32_e32 v11, v14, v11
	v_mul_f32_e32 v14, v10, v11
	v_fma_f32 v15, -v3, v14, v10
	v_fmac_f32_e32 v14, v15, v11
	v_fma_f32 v3, -v3, v14, v10
	v_div_fmas_f32 v3, v3, v11, v14
	v_div_fixup_f32 v2, v3, v41, v2
	v_add_f32_e32 v2, 0x3f0971cf, v2
	v_div_scale_f32 v3, s[4:5], v41, v41, v2
	v_div_scale_f32 v10, vcc, v2, v41, v2
	;; [unrolled: 12-line block ×4, first 2 shown]
	v_rcp_f32_e32 v11, v3
	v_fma_f32 v14, -v3, v11, 1.0
	v_fmac_f32_e32 v11, v14, v11
	v_mul_f32_e32 v14, v10, v11
	v_fma_f32 v15, -v3, v14, v10
	v_fmac_f32_e32 v14, v15, v11
	v_fma_f32 v3, -v3, v14, v10
	v_div_fmas_f32 v3, v3, v11, v14
	v_div_scale_f32 v10, s[4:5], v41, v41, s20
	v_div_scale_f32 v11, s[4:5], s20, v41, s20
	v_div_fixup_f32 v2, v3, v41, v2
	v_add_f32_e32 v14, 0xbeffeb20, v2
	v_div_scale_f32 v2, s[18:19], v41, v41, v14
	v_div_scale_f32 v3, vcc, v14, v41, v14
	v_rcp_f32_e32 v15, v10
	s_mov_b32 s18, 0xbfb8aa3b
	s_mov_b32 s19, 0x42ce8ed0
	v_fma_f32 v19, -v10, v15, 1.0
	v_fmac_f32_e32 v15, v19, v15
	v_mul_f32_e32 v19, v11, v15
	v_fma_f32 v43, -v10, v19, v11
	v_fmac_f32_e32 v19, v43, v15
	v_fma_f32 v10, -v10, v19, v11
	v_rcp_f32_e32 v42, v2
	v_fma_f32 v11, -v2, v42, 1.0
	v_fmac_f32_e32 v42, v11, v42
	v_mul_f32_e32 v11, v3, v42
	v_fma_f32 v43, -v2, v11, v3
	v_fmac_f32_e32 v11, v43, v42
	v_fma_f32 v2, -v2, v11, v3
	v_div_fmas_f32 v11, v2, v42, v11
	s_mov_b64 vcc, s[4:5]
	v_div_fmas_f32 v3, v10, v15, v19
	v_rndne_f32_e32 v2, v18
	v_fma_f32 v15, v41, s18, -v18
	v_sub_f32_e32 v18, v18, v2
	v_fmac_f32_e32 v15, 0xb2a5705f, v41
	v_cvt_i32_f32_e32 v19, v2
	v_add_f32_e32 v2, v18, v15
	v_exp_f32_e32 v15, v2
	s_mov_b32 s5, 0xf800000
	v_cmp_nlt_f32_e32 vcc, s19, v41
	s_mov_b32 s4, 0xc2b17218
	v_ldexp_f32 v15, v15, v19
	v_cndmask_b32_e32 v15, 0, v15, vcc
	v_mov_b32_e32 v10, 0x7f800000
	v_mov_b32_e32 v18, 0x260
	v_add_f32_e32 v2, v41, v41
	v_div_fixup_f32 v3, v3, v41, s20
	v_mul_f32_e32 v19, 0x4f800000, v3
	v_cmp_gt_f32_e32 vcc, s5, v3
	v_cndmask_b32_e32 v19, v3, v19, vcc
	v_sqrt_f32_e32 v42, v19
	v_cmp_ngt_f32_e64 s[4:5], s4, v41
	v_cndmask_b32_e64 v3, v10, v15, s[4:5]
	v_div_fixup_f32 v10, v11, v41, v14
	v_add_u32_e32 v11, -1, v42
	v_add_u32_e32 v14, 1, v42
	v_fma_f32 v15, -v11, v42, v19
	v_fma_f32 v43, -v14, v42, v19
	v_cmp_ge_f32_e64 s[4:5], 0, v15
	v_cndmask_b32_e64 v11, v42, v11, s[4:5]
	v_cmp_lt_f32_e64 s[4:5], 0, v43
	v_cndmask_b32_e64 v11, v11, v14, s[4:5]
	v_mul_f32_e32 v14, 0x37800000, v11
	v_cndmask_b32_e32 v11, v11, v14, vcc
	v_cmp_class_f32_e32 vcc, v19, v18
	v_add_f32_e32 v10, 0xb6536671, v10
	v_cndmask_b32_e32 v43, v11, v19, vcc
	v_fmac_f32_e32 v43, v3, v10
	v_sub_f32_e32 v10, v43, v3
	v_div_scale_f32 v11, s[4:5], v2, v2, v10
	v_div_scale_f32 v14, vcc, v10, v2, v10
                                        ; implicit-def: $vgpr42
	v_rcp_f32_e32 v15, v11
	v_fma_f32 v18, -v11, v15, 1.0
	v_fmac_f32_e32 v15, v18, v15
	v_mul_f32_e32 v18, v14, v15
	v_fma_f32 v19, -v11, v18, v14
	v_fmac_f32_e32 v18, v19, v15
	v_fma_f32 v11, -v11, v18, v14
	v_div_fmas_f32 v11, v11, v15, v18
	s_waitcnt vmcnt(0)
	v_cmp_lt_i32_e32 vcc, 0, v9
	v_div_fixup_f32 v11, v11, v2, v10
                                        ; implicit-def: $vgpr10
	s_and_saveexec_b64 s[4:5], vcc
	s_xor_b64 s[4:5], exec, s[4:5]
	s_cbranch_execz .LBB0_154
; %bb.147:
	buffer_load_dword v9, off, s[0:3], s32 offset:324 ; 4-byte Folded Reload
                                        ; implicit-def: $vgpr46
                                        ; implicit-def: $vgpr10
                                        ; implicit-def: $vgpr45
                                        ; implicit-def: $vgpr44
                                        ; implicit-def: $vgpr42
	s_waitcnt vmcnt(0)
	v_cmp_lt_i32_e32 vcc, 1, v9
	s_and_saveexec_b64 s[18:19], vcc
	s_xor_b64 s[18:19], exec, s[18:19]
	s_cbranch_execz .LBB0_151
; %bb.148:
	buffer_load_dword v9, off, s[0:3], s32 offset:324 ; 4-byte Folded Reload
	v_mov_b32_e32 v46, 0
	v_mov_b32_e32 v10, 0
	;; [unrolled: 1-line block ×5, first 2 shown]
	s_waitcnt vmcnt(0)
	v_cmp_eq_u32_e32 vcc, 2, v9
	s_and_saveexec_b64 s[20:21], vcc
	s_cbranch_execz .LBB0_150
; %bb.149:
	v_fma_f32 v10, 2.0, v11, v11
	v_sub_f32_e32 v3, v10, v3
	v_div_scale_f32 v10, s[22:23], v2, v2, v3
	v_mov_b32_e32 v42, 0x3cc3e179
	v_mov_b32_e32 v44, 0x3e8d4bde
	;; [unrolled: 1-line block ×3, first 2 shown]
	v_rcp_f32_e32 v14, v10
	v_fma_f32 v15, -v10, v14, 1.0
	v_fmac_f32_e32 v14, v15, v14
	v_div_scale_f32 v15, vcc, v3, v2, v3
	v_mul_f32_e32 v18, v15, v14
	v_fma_f32 v19, -v10, v18, v15
	v_fmac_f32_e32 v18, v19, v14
	v_fma_f32 v10, -v10, v18, v15
	v_div_fmas_f32 v10, v10, v14, v18
	v_mov_b32_e32 v14, 0xa997b271
	v_div_fixup_f32 v2, v10, v2, v3
	v_add_f32_e32 v3, 0xc0f00000, v41
	v_mov_b32_e32 v10, 0x264d2fc8
	v_fmac_f32_e32 v10, 0x26259169, v3
	v_fmac_f32_e32 v14, v3, v10
	v_mov_b32_e32 v10, 0xab30554d
	v_fmac_f32_e32 v10, v3, v14
	v_mov_b32_e32 v14, 0x2d676934
	;; [unrolled: 2-line block ×9, first 2 shown]
	v_fmac_f32_e32 v10, v3, v14
	v_fmac_f32_e32 v42, v3, v10
	v_mov_b32_e32 v10, 0x27fbf9fd
	v_fmac_f32_e32 v10, 0x284c6614, v3
	v_mov_b32_e32 v14, 0xab71f1f5
	;; [unrolled: 2-line block ×11, first 2 shown]
	v_fmac_f32_e32 v10, v3, v14
	v_fmac_f32_e32 v44, v3, v10
	v_mov_b32_e32 v10, 0x2a503dd5
	v_fmac_f32_e32 v10, 0x27f012f7, v3
	v_mov_b32_e32 v14, 0xac0bb11f
	;; [unrolled: 2-line block ×12, first 2 shown]
	v_fmac_f32_e32 v14, v3, v10
	v_fmac_f32_e32 v45, v3, v14
	v_add_f32_e32 v3, 1.0, v42
	v_div_scale_f32 v10, s[22:23], v3, v3, v42
	v_rcp_f32_e32 v14, v10
	v_fma_f32 v15, -v10, v14, 1.0
	v_fmac_f32_e32 v14, v15, v14
	v_div_scale_f32 v15, vcc, v42, v3, v42
	v_mul_f32_e32 v18, v15, v14
	v_fma_f32 v19, -v10, v18, v15
	v_fmac_f32_e32 v18, v19, v14
	v_fma_f32 v10, -v10, v18, v15
	v_div_fmas_f32 v10, v10, v14, v18
	v_div_fixup_f32 v3, v10, v3, v42
	v_add_f32_e32 v10, 1.0, v44
	v_div_scale_f32 v14, s[22:23], v10, v10, v44
	v_fma_f32 v2, -v11, v3, v2
	v_fma_f32 v11, -v43, v3, v11
	v_rcp_f32_e32 v15, v14
	v_fma_f32 v18, -v14, v15, 1.0
	v_fmac_f32_e32 v15, v18, v15
	v_div_scale_f32 v18, vcc, v44, v10, v44
	v_mul_f32_e32 v19, v18, v15
	v_fma_f32 v41, -v14, v19, v18
	v_fmac_f32_e32 v19, v41, v15
	v_fma_f32 v14, -v14, v19, v18
	v_div_fmas_f32 v14, v14, v15, v19
	v_div_fixup_f32 v10, v14, v10, v44
	v_add_f32_e32 v14, 1.0, v45
	v_div_scale_f32 v15, s[22:23], v14, v14, v45
	v_rcp_f32_e32 v18, v15
	v_fma_f32 v19, -v15, v18, 1.0
	v_fmac_f32_e32 v18, v19, v18
	v_div_scale_f32 v19, vcc, v45, v14, v45
	v_mul_f32_e32 v41, v19, v18
	v_fma_f32 v46, -v15, v41, v19
	v_fmac_f32_e32 v41, v46, v18
	v_fma_f32 v15, -v15, v41, v19
	v_div_fmas_f32 v15, v15, v18, v41
	v_div_fixup_f32 v14, v15, v14, v45
	v_sub_f32_e32 v18, v14, v10
	v_sub_f32_e32 v19, v14, v3
	v_fma_f32 v15, -v10, v11, v2
	v_mul_f32_e32 v19, v18, v19
	v_div_scale_f32 v41, s[22:23], v19, v19, v15
	v_sub_f32_e32 v3, v10, v3
	v_fma_f32 v2, v14, v11, -v2
	v_mul_f32_e32 v3, v3, v18
	v_div_scale_f32 v10, s[22:23], v3, v3, v2
	v_rcp_f32_e32 v46, v41
	v_fma_f32 v47, -v41, v46, 1.0
	v_fmac_f32_e32 v46, v47, v46
	v_div_scale_f32 v47, vcc, v15, v19, v15
	v_rcp_f32_e32 v11, v10
	v_fma_f32 v14, -v10, v11, 1.0
	v_fmac_f32_e32 v11, v14, v11
	v_mul_f32_e32 v56, v47, v46
	v_fma_f32 v57, -v41, v56, v47
	v_fmac_f32_e32 v56, v57, v46
	v_fma_f32 v41, -v41, v56, v47
	v_div_fmas_f32 v41, v41, v46, v56
	v_div_scale_f32 v14, vcc, v2, v3, v2
	v_div_fixup_f32 v46, v41, v19, v15
	v_mul_f32_e32 v15, v14, v11
	v_fma_f32 v18, -v10, v15, v14
	v_fmac_f32_e32 v15, v18, v11
	v_fma_f32 v10, -v10, v15, v14
	v_div_fmas_f32 v10, v10, v11, v15
	v_div_fixup_f32 v10, v10, v3, v2
	v_sub_f32_e32 v2, v43, v10
	v_sub_f32_e32 v43, v2, v46
.LBB0_150:
	s_or_b64 exec, exec, s[20:21]
                                        ; implicit-def: $vgpr41
                                        ; implicit-def: $vgpr11
.LBB0_151:
	s_andn2_saveexec_b64 s[18:19], s[18:19]
	s_cbranch_execz .LBB0_153
; %bb.152:
	v_add_f32_e32 v2, 0xc0f00000, v41
	v_mov_b32_e32 v3, 0x25894ff5
	v_fmac_f32_e32 v3, 0xa52598e6, v2
	v_mov_b32_e32 v10, 0x2874b170
	v_fmac_f32_e32 v10, v2, v3
	v_mov_b32_e32 v3, 0xa99f1434
	v_fmac_f32_e32 v3, v2, v10
	v_mov_b32_e32 v10, 0xab59476c
	v_fmac_f32_e32 v10, v2, v3
	v_mov_b32_e32 v3, 0x2d09438a
	v_fmac_f32_e32 v3, v2, v10
	v_mov_b32_e32 v10, 0x2e91c462
	v_fmac_f32_e32 v10, v2, v3
	v_mov_b32_e32 v3, 0xb0f4081c
	v_fmac_f32_e32 v3, v2, v10
	v_mov_b32_e32 v10, 0x3293377f
	v_fmac_f32_e32 v10, v2, v3
	v_mov_b32_e32 v3, 0xb420caf9
	v_fmac_f32_e32 v3, v2, v10
	v_mov_b32_e32 v10, 0x36193dfa
	v_fmac_f32_e32 v10, v2, v3
	v_mov_b32_e32 v3, 0xb81e1b1d
	v_fmac_f32_e32 v3, v2, v10
	v_mov_b32_e32 v10, 0x39f8ed66
	v_fmac_f32_e32 v10, v2, v3
	v_mov_b32_e32 v3, 0xbb96e142
	v_fmac_f32_e32 v3, v2, v10
	v_mov_b32_e32 v42, 0x3d188f1d
	v_fmac_f32_e32 v42, v2, v3
	v_mov_b32_e32 v3, 0xaa19400c
	v_fmac_f32_e32 v3, 0x28e01771, v2
	v_mov_b32_e32 v10, 0xac1c860c
	v_fmac_f32_e32 v10, v2, v3
	v_mov_b32_e32 v3, 0x2e384d81
	v_fmac_f32_e32 v3, v2, v10
	v_mov_b32_e32 v10, 0xaf746414
	v_fmac_f32_e32 v10, v2, v3
	v_mov_b32_e32 v3, 0xb1345520
	v_fmac_f32_e32 v3, v2, v10
	v_mov_b32_e32 v10, 0x338399e1
	v_fmac_f32_e32 v10, v2, v3
	v_mov_b32_e32 v3, 0xb4eb54a9
	v_fmac_f32_e32 v3, v2, v10
	v_mov_b32_e32 v10, 0xb627bd76
	v_fmac_f32_e32 v10, v2, v3
	v_mov_b32_e32 v3, 0x38d880c1
	v_fmac_f32_e32 v3, v2, v10
	v_mov_b32_e32 v10, 0xbabd8ca1
	v_fmac_f32_e32 v10, v2, v3
	v_mov_b32_e32 v3, 0x3c5d56a7
	v_fmac_f32_e32 v3, v2, v10
	v_mov_b32_e32 v10, 0xbdc345bc
	v_fmac_f32_e32 v10, v2, v3
	v_mov_b32_e32 v44, 0x3f0b75bc
	v_fmac_f32_e32 v44, v2, v10
	v_sub_f32_e32 v2, v11, v43
	v_fmac_f32_e32 v11, v2, v42
	v_add_f32_e32 v2, 1.0, v44
	v_mul_f32_e32 v2, v2, v11
	v_sub_f32_e32 v3, v44, v42
	v_div_scale_f32 v10, s[20:21], v3, v3, v2
	v_div_scale_f32 v11, vcc, v2, v3, v2
	v_mov_b32_e32 v46, 0
	v_mov_b32_e32 v45, 0
	v_rcp_f32_e32 v14, v10
	v_fma_f32 v15, -v10, v14, 1.0
	v_fmac_f32_e32 v14, v15, v14
	v_mul_f32_e32 v15, v11, v14
	v_fma_f32 v18, -v10, v15, v11
	v_fmac_f32_e32 v15, v18, v14
	v_fma_f32 v10, -v10, v15, v11
	v_div_fmas_f32 v10, v10, v14, v15
	v_div_fixup_f32 v10, v10, v3, v2
	v_sub_f32_e32 v43, v43, v10
.LBB0_153:
	s_or_b64 exec, exec, s[18:19]
                                        ; implicit-def: $vgpr11
.LBB0_154:
	s_andn2_saveexec_b64 s[4:5], s[4:5]
	s_cbranch_execz .LBB0_158
; %bb.155:
	buffer_load_dword v2, off, s[0:3], s32 offset:324 ; 4-byte Folded Reload
	v_mov_b32_e32 v46, 0
	v_mov_b32_e32 v42, 0
	s_waitcnt vmcnt(0)
	v_cmp_eq_u32_e32 vcc, 0, v2
	s_and_saveexec_b64 s[18:19], vcc
	s_cbranch_execz .LBB0_157
; %bb.156:
	v_sub_f32_e32 v2, v43, v11
	v_div_scale_f32 v3, s[20:21], v2, v2, v11
	v_div_scale_f32 v10, vcc, v11, v2, v11
	v_rcp_f32_e32 v14, v3
	v_fma_f32 v15, -v3, v14, 1.0
	v_fmac_f32_e32 v14, v15, v14
	v_mul_f32_e32 v15, v10, v14
	v_fma_f32 v18, -v3, v15, v10
	v_fmac_f32_e32 v15, v18, v14
	v_fma_f32 v3, -v3, v15, v10
	v_div_fmas_f32 v3, v3, v14, v15
	v_div_fixup_f32 v42, v3, v2, v11
.LBB0_157:
	s_or_b64 exec, exec, s[18:19]
	v_mov_b32_e32 v10, 0
	v_mov_b32_e32 v45, 0
	;; [unrolled: 1-line block ×3, first 2 shown]
.LBB0_158:
	s_or_b64 exec, exec, s[4:5]
.LBB0_159:
	s_or_b64 exec, exec, s[6:7]
                                        ; implicit-def: $vgpr41
.LBB0_160:
	s_andn2_saveexec_b64 s[4:5], s[16:17]
	s_cbranch_execz .LBB0_364
; %bb.161:
	buffer_load_dword v3, off, s[0:3], s32 offset:324 ; 4-byte Folded Reload
	v_add_f32_e32 v2, -4.0, v41
                                        ; implicit-def: $vgpr46
                                        ; implicit-def: $vgpr10
                                        ; implicit-def: $vgpr43
                                        ; implicit-def: $vgpr45
                                        ; implicit-def: $vgpr44
                                        ; implicit-def: $vgpr42
	s_waitcnt vmcnt(0)
	v_cmp_lt_i32_e32 vcc, 0, v3
	s_and_saveexec_b64 s[6:7], vcc
	s_xor_b64 s[6:7], exec, s[6:7]
	s_cbranch_execz .LBB0_169
; %bb.162:
	buffer_load_dword v3, off, s[0:3], s32 offset:324 ; 4-byte Folded Reload
                                        ; implicit-def: $vgpr46
                                        ; implicit-def: $vgpr10
                                        ; implicit-def: $vgpr43
                                        ; implicit-def: $vgpr45
                                        ; implicit-def: $vgpr44
                                        ; implicit-def: $vgpr42
	s_waitcnt vmcnt(0)
	v_cmp_lt_i32_e32 vcc, 1, v3
	s_and_saveexec_b64 s[16:17], vcc
	s_xor_b64 s[16:17], exec, s[16:17]
	s_cbranch_execz .LBB0_166
; %bb.163:
	buffer_load_dword v3, off, s[0:3], s32 offset:324 ; 4-byte Folded Reload
	v_mov_b32_e32 v46, 0
	v_mov_b32_e32 v10, 0
	;; [unrolled: 1-line block ×6, first 2 shown]
	s_waitcnt vmcnt(0)
	v_cmp_eq_u32_e32 vcc, 2, v3
	s_and_saveexec_b64 s[18:19], vcc
	s_cbranch_execz .LBB0_165
; %bb.164:
	v_mov_b32_e32 v3, 0xb000439b
	v_fmac_f32_e32 v3, 0x2d7dcb80, v2
	v_mov_b32_e32 v10, 0x32036958
	v_fmac_f32_e32 v10, v2, v3
	;; [unrolled: 2-line block ×16, first 2 shown]
	v_mov_b32_e32 v44, 0x3edcc3b2
	v_mov_b32_e32 v3, 0xb18f14fa
	v_fmac_f32_e32 v44, v2, v10
	v_fmac_f32_e32 v3, 0xafd7f66f, v2
	v_mov_b32_e32 v10, 0x333e03d4
	v_fmac_f32_e32 v10, v2, v3
	v_mov_b32_e32 v3, 0x352bf3f3
	;; [unrolled: 2-line block ×8, first 2 shown]
	v_mov_b32_e32 v3, 0x2f9ef5e4
	v_fmac_f32_e32 v45, v2, v10
	v_fmac_f32_e32 v3, 0xadd04817, v2
	v_mov_b32_e32 v10, 0xb15a9abc
	v_fmac_f32_e32 v10, v2, v3
	v_mov_b32_e32 v3, 0x330bbb29
	;; [unrolled: 2-line block ×10, first 2 shown]
	v_fmac_f32_e32 v3, v2, v10
	v_mul_f32_e32 v2, 0xbfb8aa3b, v41
	s_mov_b32 s20, 0xbfb8aa3b
	v_rndne_f32_e32 v10, v2
	v_sub_f32_e32 v11, v2, v10
	v_fma_f32 v2, v41, s20, -v2
	v_fmac_f32_e32 v2, 0xb2a5705f, v41
	v_add_f32_e32 v2, v11, v2
	v_exp_f32_e32 v2, v2
	v_cvt_i32_f32_e32 v10, v10
	s_mov_b32 s20, 0x42ce8ed0
	v_cmp_nlt_f32_e32 vcc, s20, v41
	s_mov_b32 s20, 0xc2b17218
	v_ldexp_f32 v2, v2, v10
	v_cndmask_b32_e32 v2, 0, v2, vcc
	v_cmp_ngt_f32_e32 vcc, s20, v41
	v_mov_b32_e32 v10, 0x7f800000
	v_cndmask_b32_e32 v2, v10, v2, vcc
	v_add_f32_e32 v11, v41, v41
	v_fma_f32 v10, v11, v3, v2
	s_mov_b32 s22, 0x40400000
	v_div_scale_f32 v14, s[20:21], s22, s22, v10
	v_rcp_f32_e32 v15, v14
	v_fma_f32 v18, -v14, v15, 1.0
	v_fmac_f32_e32 v15, v18, v15
	v_div_scale_f32 v18, vcc, v10, s22, v10
	v_mul_f32_e32 v19, v18, v15
	v_fma_f32 v41, -v14, v19, v18
	v_fmac_f32_e32 v19, v41, v15
	v_fma_f32 v14, -v14, v19, v18
	v_div_fmas_f32 v14, v14, v15, v19
	v_div_fixup_f32 v10, v14, s22, v10
	v_fmac_f32_e32 v2, v11, v10
	v_add_f32_e32 v11, 1.0, v42
	v_div_scale_f32 v14, s[20:21], v11, v11, v42
	v_rcp_f32_e32 v15, v14
	v_fma_f32 v18, -v14, v15, 1.0
	v_fmac_f32_e32 v15, v18, v15
	v_div_scale_f32 v18, vcc, v42, v11, v42
	v_mul_f32_e32 v19, v18, v15
	v_fma_f32 v41, -v14, v19, v18
	v_fmac_f32_e32 v19, v41, v15
	v_fma_f32 v14, -v14, v19, v18
	v_div_fmas_f32 v14, v14, v15, v19
	v_div_fixup_f32 v11, v14, v11, v42
	v_add_f32_e32 v14, 1.0, v44
	v_div_scale_f32 v15, s[20:21], v14, v14, v44
	v_fma_f32 v3, -v11, v10, v3
	v_fma_f32 v10, -v11, v2, v10
	v_rcp_f32_e32 v18, v15
	v_fma_f32 v19, -v15, v18, 1.0
	v_fmac_f32_e32 v18, v19, v18
	v_div_scale_f32 v19, vcc, v44, v14, v44
	v_mul_f32_e32 v41, v19, v18
	v_fma_f32 v43, -v15, v41, v19
	v_fmac_f32_e32 v41, v43, v18
	v_fma_f32 v15, -v15, v41, v19
	v_div_fmas_f32 v15, v15, v18, v41
	v_div_fixup_f32 v41, v15, v14, v44
	v_add_f32_e32 v14, 1.0, v45
	v_div_scale_f32 v15, s[20:21], v14, v14, v45
	v_rcp_f32_e32 v18, v15
	v_fma_f32 v19, -v15, v18, 1.0
	v_fmac_f32_e32 v18, v19, v18
	v_div_scale_f32 v19, vcc, v45, v14, v45
	v_mul_f32_e32 v43, v19, v18
	v_fma_f32 v46, -v15, v43, v19
	v_fmac_f32_e32 v43, v46, v18
	v_fma_f32 v15, -v15, v43, v19
	v_div_fmas_f32 v15, v15, v18, v43
	v_div_fixup_f32 v14, v15, v14, v45
	v_sub_f32_e32 v18, v14, v41
	v_sub_f32_e32 v19, v14, v11
	v_fma_f32 v15, -v41, v10, v3
	v_mul_f32_e32 v19, v18, v19
	v_div_scale_f32 v43, s[20:21], v19, v19, v15
	v_fma_f32 v3, v14, v10, -v3
	v_sub_f32_e32 v10, v41, v11
	v_mul_f32_e32 v10, v18, v10
	v_div_scale_f32 v11, s[20:21], v10, v10, v3
	v_rcp_f32_e32 v46, v43
	v_fma_f32 v47, -v43, v46, 1.0
	v_fmac_f32_e32 v46, v47, v46
	v_div_scale_f32 v47, vcc, v15, v19, v15
	v_rcp_f32_e32 v14, v11
	v_mul_f32_e32 v56, v47, v46
	v_fma_f32 v57, -v43, v56, v47
	v_fmac_f32_e32 v56, v57, v46
	v_fma_f32 v43, -v43, v56, v47
	v_div_fmas_f32 v43, v43, v46, v56
	v_div_fixup_f32 v46, v43, v19, v15
	v_fma_f32 v15, -v11, v14, 1.0
	v_fmac_f32_e32 v14, v15, v14
	v_div_scale_f32 v15, vcc, v3, v10, v3
	v_mul_f32_e32 v18, v15, v14
	v_fma_f32 v19, -v11, v18, v15
	v_fmac_f32_e32 v18, v19, v14
	v_fma_f32 v11, -v11, v18, v15
	v_div_fmas_f32 v11, v11, v14, v18
	v_div_fixup_f32 v10, v11, v10, v3
	v_sub_f32_e32 v2, v2, v10
	v_sub_f32_e32 v43, v2, v46
.LBB0_165:
	s_or_b64 exec, exec, s[18:19]
                                        ; implicit-def: $vgpr2
                                        ; implicit-def: $vgpr41
.LBB0_166:
	s_andn2_saveexec_b64 s[16:17], s[16:17]
	s_cbranch_execz .LBB0_168
; %bb.167:
	v_mov_b32_e32 v3, 0x2fb22351
	v_fmac_f32_e32 v3, 0xade6db4a, v2
	v_mov_b32_e32 v10, 0xb1786b26
	v_fmac_f32_e32 v10, v2, v3
	;; [unrolled: 2-line block ×10, first 2 shown]
	v_mul_f32_e32 v3, 0xbfb8aa3b, v41
	s_mov_b32 s18, 0xbfb8aa3b
	v_rndne_f32_e32 v11, v3
	v_sub_f32_e32 v14, v3, v11
	v_fma_f32 v3, v41, s18, -v3
	v_fmac_f32_e32 v3, 0xb2a5705f, v41
	v_add_f32_e32 v3, v14, v3
	v_exp_f32_e32 v3, v3
	v_cvt_i32_f32_e32 v11, v11
	s_mov_b32 s18, 0x42ce8ed0
	v_cmp_nlt_f32_e32 vcc, s18, v41
	s_mov_b32 s18, 0xc2b17218
	v_ldexp_f32 v3, v3, v11
	v_mov_b32_e32 v14, 0x3d586f6b
	v_cndmask_b32_e32 v3, 0, v3, vcc
	v_mov_b32_e32 v11, 0x7f800000
	v_cmp_ngt_f32_e32 vcc, s18, v41
	v_fmac_f32_e32 v14, v2, v10
	v_add_f32_e32 v10, v41, v41
	v_cndmask_b32_e32 v3, v11, v3, vcc
	v_fmac_f32_e32 v3, v10, v14
	v_mov_b32_e32 v10, 0x2e9c54b0
	v_fmac_f32_e32 v10, 0xac90ce0a, v2
	v_mov_b32_e32 v11, 0xb0ee7801
	;; [unrolled: 2-line block ×9, first 2 shown]
	v_mov_b32_e32 v10, 0x30158db2
	v_fmac_f32_e32 v42, v2, v11
	v_fmac_f32_e32 v10, 0xaf4685e4, v2
	v_mov_b32_e32 v11, 0x3289bd4b
	v_fmac_f32_e32 v11, v2, v10
	v_mov_b32_e32 v10, 0xb420d855
	;; [unrolled: 2-line block ×9, first 2 shown]
	v_fmac_f32_e32 v44, v2, v10
	v_sub_f32_e32 v2, v14, v3
	v_fmac_f32_e32 v14, v42, v2
	v_add_f32_e32 v2, 1.0, v44
	v_mul_f32_e32 v2, v2, v14
	v_sub_f32_e32 v10, v44, v42
	v_div_scale_f32 v11, s[18:19], v10, v10, v2
	v_div_scale_f32 v14, vcc, v2, v10, v2
	v_mov_b32_e32 v46, 0
	v_mov_b32_e32 v45, 0
	v_rcp_f32_e32 v15, v11
	v_fma_f32 v18, -v11, v15, 1.0
	v_fmac_f32_e32 v15, v18, v15
	v_mul_f32_e32 v18, v14, v15
	v_fma_f32 v19, -v11, v18, v14
	v_fmac_f32_e32 v18, v19, v15
	v_fma_f32 v11, -v11, v18, v14
	v_div_fmas_f32 v11, v11, v15, v18
	v_div_fixup_f32 v10, v11, v10, v2
	v_sub_f32_e32 v43, v3, v10
.LBB0_168:
	s_or_b64 exec, exec, s[16:17]
                                        ; implicit-def: $vgpr2
                                        ; implicit-def: $vgpr41
.LBB0_169:
	s_andn2_saveexec_b64 s[6:7], s[6:7]
	s_cbranch_execz .LBB0_173
; %bb.170:
	buffer_load_dword v3, off, s[0:3], s32 offset:324 ; 4-byte Folded Reload
	v_mov_b32_e32 v46, 0
	v_mov_b32_e32 v43, 0
	;; [unrolled: 1-line block ×3, first 2 shown]
	s_waitcnt vmcnt(0)
	v_cmp_eq_u32_e32 vcc, 0, v3
	s_and_saveexec_b64 s[16:17], vcc
	s_cbranch_execz .LBB0_172
; %bb.171:
	v_mov_b32_e32 v3, 0x2fb22351
	v_fmac_f32_e32 v3, 0xade6db4a, v2
	v_mov_b32_e32 v10, 0xb1786b26
	v_fmac_f32_e32 v10, v2, v3
	;; [unrolled: 2-line block ×10, first 2 shown]
	v_mul_f32_e32 v3, 0xbfb8aa3b, v41
	s_mov_b32 s18, 0xbfb8aa3b
	v_rndne_f32_e32 v11, v3
	v_sub_f32_e32 v14, v3, v11
	v_fma_f32 v3, v41, s18, -v3
	v_fmac_f32_e32 v3, 0xb2a5705f, v41
	v_add_f32_e32 v3, v14, v3
	v_exp_f32_e32 v3, v3
	v_cvt_i32_f32_e32 v11, v11
	s_mov_b32 s18, 0x42ce8ed0
	v_mov_b32_e32 v14, 0x3d586f6b
	v_cmp_nlt_f32_e32 vcc, s18, v41
	v_ldexp_f32 v3, v3, v11
	s_mov_b32 s18, 0xc2b17218
	v_fmac_f32_e32 v14, v2, v10
	v_cndmask_b32_e32 v3, 0, v3, vcc
	v_mov_b32_e32 v10, 0x7f800000
	v_cmp_ngt_f32_e32 vcc, s18, v41
	v_add_f32_e32 v2, v41, v41
	v_cndmask_b32_e32 v43, v10, v3, vcc
	v_fmac_f32_e32 v43, v2, v14
	v_sub_f32_e32 v2, v43, v14
	v_div_scale_f32 v3, s[18:19], v2, v2, v14
	v_div_scale_f32 v10, vcc, v14, v2, v14
	v_rcp_f32_e32 v11, v3
	v_fma_f32 v15, -v3, v11, 1.0
	v_fmac_f32_e32 v11, v15, v11
	v_mul_f32_e32 v15, v10, v11
	v_fma_f32 v18, -v3, v15, v10
	v_fmac_f32_e32 v15, v18, v11
	v_fma_f32 v3, -v3, v15, v10
	v_div_fmas_f32 v3, v3, v11, v15
	v_div_fixup_f32 v42, v3, v2, v14
.LBB0_172:
	s_or_b64 exec, exec, s[16:17]
	v_mov_b32_e32 v10, 0
	v_mov_b32_e32 v45, 0
	;; [unrolled: 1-line block ×3, first 2 shown]
.LBB0_173:
	s_or_b64 exec, exec, s[6:7]
	s_or_b64 exec, exec, s[4:5]
                                        ; implicit-def: $vgpr41
.LBB0_174:
	s_andn2_saveexec_b64 s[4:5], s[14:15]
	s_cbranch_execz .LBB0_365
.LBB0_175:
	buffer_load_dword v3, off, s[0:3], s32 offset:324 ; 4-byte Folded Reload
	v_add_f32_e32 v2, -2.0, v41
                                        ; implicit-def: $vgpr46
                                        ; implicit-def: $vgpr10
                                        ; implicit-def: $vgpr43
                                        ; implicit-def: $vgpr45
                                        ; implicit-def: $vgpr44
                                        ; implicit-def: $vgpr42
	s_waitcnt vmcnt(0)
	v_cmp_lt_i32_e32 vcc, 0, v3
	s_and_saveexec_b64 s[6:7], vcc
	s_xor_b64 s[6:7], exec, s[6:7]
	s_cbranch_execz .LBB0_183
; %bb.176:
	buffer_load_dword v3, off, s[0:3], s32 offset:324 ; 4-byte Folded Reload
                                        ; implicit-def: $vgpr46
                                        ; implicit-def: $vgpr10
                                        ; implicit-def: $vgpr43
                                        ; implicit-def: $vgpr45
                                        ; implicit-def: $vgpr44
                                        ; implicit-def: $vgpr42
	s_waitcnt vmcnt(0)
	v_cmp_lt_i32_e32 vcc, 1, v3
	s_and_saveexec_b64 s[14:15], vcc
	s_xor_b64 s[14:15], exec, s[14:15]
	s_cbranch_execz .LBB0_180
; %bb.177:
	buffer_load_dword v3, off, s[0:3], s32 offset:324 ; 4-byte Folded Reload
	v_mov_b32_e32 v46, 0
	v_mov_b32_e32 v10, 0
	;; [unrolled: 1-line block ×6, first 2 shown]
	s_waitcnt vmcnt(0)
	v_cmp_eq_u32_e32 vcc, 2, v3
	s_and_saveexec_b64 s[16:17], vcc
	s_cbranch_execz .LBB0_179
; %bb.178:
	v_mov_b32_e32 v3, 0x2caabff3
	v_fmac_f32_e32 v3, 0x2bcba156, v2
	v_mov_b32_e32 v10, 0xb0341271
	v_fmac_f32_e32 v10, v2, v3
	;; [unrolled: 2-line block ×8, first 2 shown]
	v_mov_b32_e32 v42, 0x3d396045
	v_mov_b32_e32 v3, 0xb1b7ebe3
	v_fmac_f32_e32 v42, v2, v10
	v_fmac_f32_e32 v3, 0x303f4e21, v2
	v_mov_b32_e32 v10, 0xb390da29
	v_fmac_f32_e32 v10, v2, v3
	v_mov_b32_e32 v3, 0x35c9a4ee
	;; [unrolled: 2-line block ×16, first 2 shown]
	v_mov_b32_e32 v3, 0x30f4db6f
	v_fmac_f32_e32 v45, v2, v10
	v_fmac_f32_e32 v3, 0xaf22c6bf, v2
	v_mov_b32_e32 v10, 0xb2a55e4f
	v_fmac_f32_e32 v10, v2, v3
	v_mov_b32_e32 v3, 0x344f05bc
	;; [unrolled: 2-line block ×10, first 2 shown]
	v_fmac_f32_e32 v3, v2, v10
	v_mul_f32_e32 v2, 0xbfb8aa3b, v41
	s_mov_b32 s18, 0xbfb8aa3b
	v_rndne_f32_e32 v10, v2
	v_sub_f32_e32 v11, v2, v10
	v_fma_f32 v2, v41, s18, -v2
	v_fmac_f32_e32 v2, 0xb2a5705f, v41
	v_add_f32_e32 v2, v11, v2
	v_exp_f32_e32 v2, v2
	v_cvt_i32_f32_e32 v10, v10
	s_mov_b32 s18, 0x42ce8ed0
	v_cmp_nlt_f32_e32 vcc, s18, v41
	s_mov_b32 s18, 0xc2b17218
	v_ldexp_f32 v2, v2, v10
	v_cndmask_b32_e32 v2, 0, v2, vcc
	v_cmp_ngt_f32_e32 vcc, s18, v41
	v_mov_b32_e32 v10, 0x7f800000
	v_cndmask_b32_e32 v2, v10, v2, vcc
	v_add_f32_e32 v11, v41, v41
	v_fma_f32 v10, v11, v3, v2
	s_mov_b32 s20, 0x40400000
	v_div_scale_f32 v14, s[18:19], s20, s20, v10
	v_rcp_f32_e32 v15, v14
	v_fma_f32 v18, -v14, v15, 1.0
	v_fmac_f32_e32 v15, v18, v15
	v_div_scale_f32 v18, vcc, v10, s20, v10
	v_mul_f32_e32 v19, v18, v15
	v_fma_f32 v41, -v14, v19, v18
	v_fmac_f32_e32 v19, v41, v15
	v_fma_f32 v14, -v14, v19, v18
	v_div_fmas_f32 v14, v14, v15, v19
	v_div_fixup_f32 v10, v14, s20, v10
	v_fmac_f32_e32 v2, v11, v10
	v_add_f32_e32 v11, 1.0, v42
	v_div_scale_f32 v14, s[18:19], v11, v11, v42
	v_rcp_f32_e32 v15, v14
	v_fma_f32 v18, -v14, v15, 1.0
	v_fmac_f32_e32 v15, v18, v15
	v_div_scale_f32 v18, vcc, v42, v11, v42
	v_mul_f32_e32 v19, v18, v15
	v_fma_f32 v41, -v14, v19, v18
	v_fmac_f32_e32 v19, v41, v15
	v_fma_f32 v14, -v14, v19, v18
	v_div_fmas_f32 v14, v14, v15, v19
	v_div_fixup_f32 v11, v14, v11, v42
	v_add_f32_e32 v14, 1.0, v44
	v_div_scale_f32 v15, s[18:19], v14, v14, v44
	v_fma_f32 v3, -v11, v10, v3
	v_fma_f32 v10, -v11, v2, v10
	v_rcp_f32_e32 v18, v15
	v_fma_f32 v19, -v15, v18, 1.0
	v_fmac_f32_e32 v18, v19, v18
	v_div_scale_f32 v19, vcc, v44, v14, v44
	v_mul_f32_e32 v41, v19, v18
	v_fma_f32 v43, -v15, v41, v19
	v_fmac_f32_e32 v41, v43, v18
	v_fma_f32 v15, -v15, v41, v19
	v_div_fmas_f32 v15, v15, v18, v41
	v_div_fixup_f32 v41, v15, v14, v44
	v_add_f32_e32 v14, 1.0, v45
	v_div_scale_f32 v15, s[18:19], v14, v14, v45
	v_rcp_f32_e32 v18, v15
	v_fma_f32 v19, -v15, v18, 1.0
	v_fmac_f32_e32 v18, v19, v18
	v_div_scale_f32 v19, vcc, v45, v14, v45
	v_mul_f32_e32 v43, v19, v18
	v_fma_f32 v46, -v15, v43, v19
	v_fmac_f32_e32 v43, v46, v18
	v_fma_f32 v15, -v15, v43, v19
	v_div_fmas_f32 v15, v15, v18, v43
	v_div_fixup_f32 v14, v15, v14, v45
	v_sub_f32_e32 v18, v14, v41
	v_sub_f32_e32 v19, v14, v11
	v_fma_f32 v15, -v41, v10, v3
	v_mul_f32_e32 v19, v18, v19
	v_div_scale_f32 v43, s[18:19], v19, v19, v15
	v_fma_f32 v3, v14, v10, -v3
	v_sub_f32_e32 v10, v41, v11
	v_mul_f32_e32 v10, v18, v10
	v_div_scale_f32 v11, s[18:19], v10, v10, v3
	v_rcp_f32_e32 v46, v43
	v_fma_f32 v47, -v43, v46, 1.0
	v_fmac_f32_e32 v46, v47, v46
	v_div_scale_f32 v47, vcc, v15, v19, v15
	v_rcp_f32_e32 v14, v11
	v_mul_f32_e32 v56, v47, v46
	v_fma_f32 v57, -v43, v56, v47
	v_fmac_f32_e32 v56, v57, v46
	v_fma_f32 v43, -v43, v56, v47
	v_div_fmas_f32 v43, v43, v46, v56
	v_div_fixup_f32 v46, v43, v19, v15
	v_fma_f32 v15, -v11, v14, 1.0
	v_fmac_f32_e32 v14, v15, v14
	v_div_scale_f32 v15, vcc, v3, v10, v3
	v_mul_f32_e32 v18, v15, v14
	v_fma_f32 v19, -v11, v18, v15
	v_fmac_f32_e32 v18, v19, v14
	v_fma_f32 v11, -v11, v18, v15
	v_div_fmas_f32 v11, v11, v14, v18
	v_div_fixup_f32 v10, v11, v10, v3
	v_sub_f32_e32 v2, v2, v10
	v_sub_f32_e32 v43, v2, v46
.LBB0_179:
	s_or_b64 exec, exec, s[16:17]
                                        ; implicit-def: $vgpr2
                                        ; implicit-def: $vgpr41
.LBB0_180:
	s_andn2_saveexec_b64 s[14:15], s[14:15]
	s_cbranch_execz .LBB0_182
; %bb.181:
	v_mov_b32_e32 v3, 0x3106d68d
	v_fmac_f32_e32 v3, 0xaf31cb49, v2
	v_mov_b32_e32 v10, 0xb2b806a8
	v_fmac_f32_e32 v10, v2, v3
	;; [unrolled: 2-line block ×10, first 2 shown]
	v_mul_f32_e32 v3, 0xbfb8aa3b, v41
	s_mov_b32 s16, 0xbfb8aa3b
	v_rndne_f32_e32 v11, v3
	v_sub_f32_e32 v14, v3, v11
	v_fma_f32 v3, v41, s16, -v3
	v_fmac_f32_e32 v3, 0xb2a5705f, v41
	v_add_f32_e32 v3, v14, v3
	v_exp_f32_e32 v3, v3
	v_cvt_i32_f32_e32 v11, v11
	s_mov_b32 s16, 0x42ce8ed0
	v_cmp_nlt_f32_e32 vcc, s16, v41
	s_mov_b32 s16, 0xc2b17218
	v_ldexp_f32 v3, v3, v11
	v_mov_b32_e32 v14, 0x3decf544
	v_cndmask_b32_e32 v3, 0, v3, vcc
	v_mov_b32_e32 v11, 0x7f800000
	v_cmp_ngt_f32_e32 vcc, s16, v41
	v_fmac_f32_e32 v14, v2, v10
	v_add_f32_e32 v10, v41, v41
	v_cndmask_b32_e32 v3, v11, v3, vcc
	v_fmac_f32_e32 v3, v10, v14
	v_mov_b32_e32 v10, 0x2eba5957
	v_fmac_f32_e32 v10, 0xace01337, v2
	v_mov_b32_e32 v11, 0xb00d9f71
	;; [unrolled: 2-line block ×20, first 2 shown]
	v_fmac_f32_e32 v44, v2, v10
	v_sub_f32_e32 v2, v14, v3
	v_fmac_f32_e32 v14, v42, v2
	v_add_f32_e32 v2, 1.0, v44
	v_mul_f32_e32 v2, v2, v14
	v_sub_f32_e32 v10, v44, v42
	v_div_scale_f32 v11, s[16:17], v10, v10, v2
	v_div_scale_f32 v14, vcc, v2, v10, v2
	v_mov_b32_e32 v46, 0
	v_mov_b32_e32 v45, 0
	v_rcp_f32_e32 v15, v11
	v_fma_f32 v18, -v11, v15, 1.0
	v_fmac_f32_e32 v15, v18, v15
	v_mul_f32_e32 v18, v14, v15
	v_fma_f32 v19, -v11, v18, v14
	v_fmac_f32_e32 v18, v19, v15
	v_fma_f32 v11, -v11, v18, v14
	v_div_fmas_f32 v11, v11, v15, v18
	v_div_fixup_f32 v10, v11, v10, v2
	v_sub_f32_e32 v43, v3, v10
.LBB0_182:
	s_or_b64 exec, exec, s[14:15]
                                        ; implicit-def: $vgpr2
                                        ; implicit-def: $vgpr41
.LBB0_183:
	s_andn2_saveexec_b64 s[6:7], s[6:7]
	s_cbranch_execz .LBB0_187
; %bb.184:
	buffer_load_dword v3, off, s[0:3], s32 offset:324 ; 4-byte Folded Reload
	v_mov_b32_e32 v46, 0
	v_mov_b32_e32 v43, 0
	;; [unrolled: 1-line block ×3, first 2 shown]
	s_waitcnt vmcnt(0)
	v_cmp_eq_u32_e32 vcc, 0, v3
	s_and_saveexec_b64 s[14:15], vcc
	s_cbranch_execz .LBB0_186
; %bb.185:
	v_mov_b32_e32 v3, 0x3106d68d
	v_fmac_f32_e32 v3, 0xaf31cb49, v2
	v_mov_b32_e32 v10, 0xb2b806a8
	v_fmac_f32_e32 v10, v2, v3
	;; [unrolled: 2-line block ×10, first 2 shown]
	v_mul_f32_e32 v3, 0xbfb8aa3b, v41
	s_mov_b32 s16, 0xbfb8aa3b
	v_rndne_f32_e32 v11, v3
	v_sub_f32_e32 v14, v3, v11
	v_fma_f32 v3, v41, s16, -v3
	v_fmac_f32_e32 v3, 0xb2a5705f, v41
	v_add_f32_e32 v3, v14, v3
	v_exp_f32_e32 v3, v3
	v_cvt_i32_f32_e32 v11, v11
	s_mov_b32 s16, 0x42ce8ed0
	v_mov_b32_e32 v14, 0x3decf544
	v_cmp_nlt_f32_e32 vcc, s16, v41
	v_ldexp_f32 v3, v3, v11
	s_mov_b32 s16, 0xc2b17218
	v_fmac_f32_e32 v14, v2, v10
	v_cndmask_b32_e32 v3, 0, v3, vcc
	v_mov_b32_e32 v10, 0x7f800000
	v_cmp_ngt_f32_e32 vcc, s16, v41
	v_add_f32_e32 v2, v41, v41
	v_cndmask_b32_e32 v43, v10, v3, vcc
	v_fmac_f32_e32 v43, v2, v14
	v_sub_f32_e32 v2, v43, v14
	v_div_scale_f32 v3, s[16:17], v2, v2, v14
	v_div_scale_f32 v10, vcc, v14, v2, v14
	v_rcp_f32_e32 v11, v3
	v_fma_f32 v15, -v3, v11, 1.0
	v_fmac_f32_e32 v11, v15, v11
	v_mul_f32_e32 v15, v10, v11
	v_fma_f32 v18, -v3, v15, v10
	v_fmac_f32_e32 v15, v18, v11
	v_fma_f32 v3, -v3, v15, v10
	v_div_fmas_f32 v3, v3, v11, v15
	v_div_fixup_f32 v42, v3, v2, v14
.LBB0_186:
	s_or_b64 exec, exec, s[14:15]
	v_mov_b32_e32 v10, 0
	v_mov_b32_e32 v45, 0
	;; [unrolled: 1-line block ×3, first 2 shown]
.LBB0_187:
	s_or_b64 exec, exec, s[6:7]
	s_or_b64 exec, exec, s[4:5]
                                        ; implicit-def: $vgpr41
.LBB0_188:
	s_andn2_saveexec_b64 s[4:5], s[12:13]
	s_cbranch_execz .LBB0_366
.LBB0_189:
	buffer_load_dword v2, off, s[0:3], s32 offset:324 ; 4-byte Folded Reload
                                        ; implicit-def: $vgpr46
                                        ; implicit-def: $vgpr10
                                        ; implicit-def: $vgpr43
                                        ; implicit-def: $vgpr45
                                        ; implicit-def: $vgpr44
                                        ; implicit-def: $vgpr42
	s_waitcnt vmcnt(0)
	v_cmp_lt_i32_e32 vcc, 0, v2
	s_and_saveexec_b64 s[6:7], vcc
	s_xor_b64 s[6:7], exec, s[6:7]
	s_cbranch_execz .LBB0_197
; %bb.190:
	buffer_load_dword v2, off, s[0:3], s32 offset:324 ; 4-byte Folded Reload
                                        ; implicit-def: $vgpr46
                                        ; implicit-def: $vgpr10
                                        ; implicit-def: $vgpr43
                                        ; implicit-def: $vgpr45
                                        ; implicit-def: $vgpr44
                                        ; implicit-def: $vgpr42
	s_waitcnt vmcnt(0)
	v_cmp_lt_i32_e32 vcc, 1, v2
	s_and_saveexec_b64 s[12:13], vcc
	s_xor_b64 s[12:13], exec, s[12:13]
	s_cbranch_execz .LBB0_194
; %bb.191:
	buffer_load_dword v2, off, s[0:3], s32 offset:324 ; 4-byte Folded Reload
	v_mov_b32_e32 v46, 0
	v_mov_b32_e32 v10, 0
	;; [unrolled: 1-line block ×6, first 2 shown]
	s_waitcnt vmcnt(0)
	v_cmp_eq_u32_e32 vcc, 2, v2
	s_and_saveexec_b64 s[14:15], vcc
	s_cbranch_execz .LBB0_193
; %bb.192:
	v_mov_b32_e32 v2, 0x32ce461e
	v_fmac_f32_e32 v2, 0xb00c3d32, v41
	v_mov_b32_e32 v3, 0xb5068207
	v_fmac_f32_e32 v3, v41, v2
	;; [unrolled: 2-line block ×6, first 2 shown]
	v_mov_b32_e32 v42, 0x3d774dcb
	v_mov_b32_e32 v2, 0x33a65836
	v_fmac_f32_e32 v42, v41, v3
	v_fmac_f32_e32 v2, 0xb25ebb25, v41
	v_mov_b32_e32 v3, 0x35d16908
	v_fmac_f32_e32 v3, v41, v2
	v_mov_b32_e32 v2, 0xb7849568
	v_fmac_f32_e32 v2, v41, v3
	v_mov_b32_e32 v3, 0xb9ad3ff4
	v_fmac_f32_e32 v3, v41, v2
	v_mov_b32_e32 v2, 0x3c1f9fb7
	v_fmac_f32_e32 v2, v41, v3
	v_mov_b32_e32 v3, 0xbdf4c255
	v_fmac_f32_e32 v3, v41, v2
	v_mov_b32_e32 v44, 0x3f46dde5
	v_mov_b32_e32 v2, 0xb4a28ea1
	v_fmac_f32_e32 v44, v41, v3
	v_fmac_f32_e32 v2, 0xb21f8577, v41
	v_mov_b32_e32 v3, 0xb62843db
	v_fmac_f32_e32 v3, v41, v2
	v_mov_b32_e32 v2, 0xb6f5dcde
	v_fmac_f32_e32 v2, v41, v3
	v_mov_b32_e32 v3, 0x39800a51
	v_fmac_f32_e32 v3, v41, v2
	v_mov_b32_e32 v2, 0x3d4aa72f
	v_fmac_f32_e32 v2, v41, v3
	v_mov_b32_e32 v3, 0xbf8334b6
	v_fmac_f32_e32 v3, v41, v2
	;; [unrolled: 14-line block ×3, first 2 shown]
	v_mov_b32_e32 v2, 0x3d638e39
	v_fmac_f32_e32 v2, v41, v3
	v_mov_b32_e32 v10, 0xbe124925
	v_fmac_f32_e32 v10, v41, v2
	v_mov_b32_e32 v3, 0x3e4ccccd
	v_mul_f32_e32 v2, 0xbfb8aa3b, v41
	v_fmac_f32_e32 v3, v41, v10
	s_mov_b32 s16, 0xbfb8aa3b
	v_rndne_f32_e32 v10, v2
	v_sub_f32_e32 v11, v2, v10
	v_fma_f32 v2, v41, s16, -v2
	v_fmac_f32_e32 v2, 0xb2a5705f, v41
	v_add_f32_e32 v2, v11, v2
	v_exp_f32_e32 v2, v2
	v_cvt_i32_f32_e32 v10, v10
	s_mov_b32 s16, 0x42ce8ed0
	v_cmp_nlt_f32_e32 vcc, s16, v41
	s_mov_b32 s16, 0xc2b17218
	v_ldexp_f32 v2, v2, v10
	v_cndmask_b32_e32 v2, 0, v2, vcc
	v_cmp_ngt_f32_e32 vcc, s16, v41
	v_mov_b32_e32 v10, 0x7f800000
	v_cndmask_b32_e32 v2, v10, v2, vcc
	v_add_f32_e32 v11, v41, v41
	v_fma_f32 v10, v11, v3, v2
	s_mov_b32 s18, 0x40400000
	v_div_scale_f32 v14, s[16:17], s18, s18, v10
	v_rcp_f32_e32 v15, v14
	v_fma_f32 v18, -v14, v15, 1.0
	v_fmac_f32_e32 v15, v18, v15
	v_div_scale_f32 v18, vcc, v10, s18, v10
	v_mul_f32_e32 v19, v18, v15
	v_fma_f32 v41, -v14, v19, v18
	v_fmac_f32_e32 v19, v41, v15
	v_fma_f32 v14, -v14, v19, v18
	v_div_fmas_f32 v14, v14, v15, v19
	v_div_fixup_f32 v10, v14, s18, v10
	v_fmac_f32_e32 v2, v11, v10
	v_add_f32_e32 v11, 1.0, v42
	v_div_scale_f32 v14, s[16:17], v11, v11, v42
	v_rcp_f32_e32 v15, v14
	v_fma_f32 v18, -v14, v15, 1.0
	v_fmac_f32_e32 v15, v18, v15
	v_div_scale_f32 v18, vcc, v42, v11, v42
	v_mul_f32_e32 v19, v18, v15
	v_fma_f32 v41, -v14, v19, v18
	v_fmac_f32_e32 v19, v41, v15
	v_fma_f32 v14, -v14, v19, v18
	v_div_fmas_f32 v14, v14, v15, v19
	v_div_fixup_f32 v11, v14, v11, v42
	v_add_f32_e32 v14, 1.0, v44
	v_div_scale_f32 v15, s[16:17], v14, v14, v44
	v_fma_f32 v3, -v11, v10, v3
	v_fma_f32 v10, -v11, v2, v10
	v_rcp_f32_e32 v18, v15
	v_fma_f32 v19, -v15, v18, 1.0
	v_fmac_f32_e32 v18, v19, v18
	v_div_scale_f32 v19, vcc, v44, v14, v44
	v_mul_f32_e32 v41, v19, v18
	v_fma_f32 v43, -v15, v41, v19
	v_fmac_f32_e32 v41, v43, v18
	v_fma_f32 v15, -v15, v41, v19
	v_div_fmas_f32 v15, v15, v18, v41
	v_div_fixup_f32 v41, v15, v14, v44
	v_add_f32_e32 v14, 1.0, v45
	v_div_scale_f32 v15, s[16:17], v14, v14, v45
	v_rcp_f32_e32 v18, v15
	v_fma_f32 v19, -v15, v18, 1.0
	v_fmac_f32_e32 v18, v19, v18
	v_div_scale_f32 v19, vcc, v45, v14, v45
	v_mul_f32_e32 v43, v19, v18
	v_fma_f32 v46, -v15, v43, v19
	v_fmac_f32_e32 v43, v46, v18
	v_fma_f32 v15, -v15, v43, v19
	v_div_fmas_f32 v15, v15, v18, v43
	v_div_fixup_f32 v14, v15, v14, v45
	v_sub_f32_e32 v18, v14, v41
	v_sub_f32_e32 v19, v14, v11
	v_fma_f32 v15, -v41, v10, v3
	v_mul_f32_e32 v19, v18, v19
	v_div_scale_f32 v43, s[16:17], v19, v19, v15
	v_fma_f32 v3, v14, v10, -v3
	v_sub_f32_e32 v10, v41, v11
	v_mul_f32_e32 v10, v18, v10
	v_div_scale_f32 v11, s[16:17], v10, v10, v3
	v_rcp_f32_e32 v46, v43
	v_fma_f32 v47, -v43, v46, 1.0
	v_fmac_f32_e32 v46, v47, v46
	v_div_scale_f32 v47, vcc, v15, v19, v15
	v_rcp_f32_e32 v14, v11
	v_mul_f32_e32 v56, v47, v46
	v_fma_f32 v57, -v43, v56, v47
	v_fmac_f32_e32 v56, v57, v46
	v_fma_f32 v43, -v43, v56, v47
	v_div_fmas_f32 v43, v43, v46, v56
	v_div_fixup_f32 v46, v43, v19, v15
	v_fma_f32 v15, -v11, v14, 1.0
	v_fmac_f32_e32 v14, v15, v14
	v_div_scale_f32 v15, vcc, v3, v10, v3
	v_mul_f32_e32 v18, v15, v14
	v_fma_f32 v19, -v11, v18, v15
	v_fmac_f32_e32 v18, v19, v14
	v_fma_f32 v11, -v11, v18, v15
	v_div_fmas_f32 v11, v11, v14, v18
	v_div_fixup_f32 v10, v11, v10, v3
	v_sub_f32_e32 v2, v2, v10
	v_sub_f32_e32 v43, v2, v46
.LBB0_193:
	s_or_b64 exec, exec, s[14:15]
                                        ; implicit-def: $vgpr41
.LBB0_194:
	s_andn2_saveexec_b64 s[12:13], s[12:13]
	s_cbranch_execz .LBB0_196
; %bb.195:
	v_mov_b32_e32 v2, 0x35a2b3c5
	v_fmac_f32_e32 v2, 0xb3b398d8, v41
	v_mov_b32_e32 v3, 0xb7420cb6
	v_fmac_f32_e32 v3, v41, v2
	;; [unrolled: 2-line block ×8, first 2 shown]
	v_mul_f32_e32 v2, 0xbfb8aa3b, v41
	s_mov_b32 s14, 0xbfb8aa3b
	v_rndne_f32_e32 v10, v2
	v_sub_f32_e32 v11, v2, v10
	v_fma_f32 v2, v41, s14, -v2
	v_fmac_f32_e32 v2, 0xb2a5705f, v41
	v_add_f32_e32 v2, v11, v2
	v_exp_f32_e32 v2, v2
	v_cvt_i32_f32_e32 v10, v10
	s_mov_b32 s14, 0x42ce8ed0
	v_cmp_nlt_f32_e32 vcc, s14, v41
	s_mov_b32 s14, 0xc2b17218
	v_ldexp_f32 v2, v2, v10
	v_mov_b32_e32 v11, 0x3eaaaaab
	v_cndmask_b32_e32 v2, 0, v2, vcc
	v_mov_b32_e32 v10, 0x7f800000
	v_cmp_ngt_f32_e32 vcc, s14, v41
	v_fmac_f32_e32 v11, v41, v3
	v_add_f32_e32 v3, v41, v41
	v_cndmask_b32_e32 v2, v10, v2, vcc
	v_fmac_f32_e32 v2, v3, v11
	v_mov_b32_e32 v3, 0x32d609dd
	v_fmac_f32_e32 v3, 0xb121a6de, v41
	v_mov_b32_e32 v10, 0xb343c735
	;; [unrolled: 2-line block ×16, first 2 shown]
	v_fmac_f32_e32 v44, v41, v3
	v_sub_f32_e32 v3, v11, v2
	v_fmac_f32_e32 v11, v42, v3
	v_add_f32_e32 v3, 1.0, v44
	v_mul_f32_e32 v3, v3, v11
	v_sub_f32_e32 v10, v44, v42
	v_div_scale_f32 v11, s[14:15], v10, v10, v3
	v_div_scale_f32 v14, vcc, v3, v10, v3
	v_mov_b32_e32 v46, 0
	v_mov_b32_e32 v45, 0
	v_rcp_f32_e32 v15, v11
	v_fma_f32 v18, -v11, v15, 1.0
	v_fmac_f32_e32 v15, v18, v15
	v_mul_f32_e32 v18, v14, v15
	v_fma_f32 v19, -v11, v18, v14
	v_fmac_f32_e32 v18, v19, v15
	v_fma_f32 v11, -v11, v18, v14
	v_div_fmas_f32 v11, v11, v15, v18
	v_div_fixup_f32 v10, v11, v10, v3
	v_sub_f32_e32 v43, v2, v10
.LBB0_196:
	s_or_b64 exec, exec, s[12:13]
                                        ; implicit-def: $vgpr41
.LBB0_197:
	s_andn2_saveexec_b64 s[6:7], s[6:7]
	s_cbranch_execz .LBB0_201
; %bb.198:
	buffer_load_dword v2, off, s[0:3], s32 offset:324 ; 4-byte Folded Reload
	v_mov_b32_e32 v46, 0
	v_mov_b32_e32 v43, 0
	;; [unrolled: 1-line block ×3, first 2 shown]
	s_waitcnt vmcnt(0)
	v_cmp_eq_u32_e32 vcc, 0, v2
	s_and_saveexec_b64 s[12:13], vcc
	s_cbranch_execz .LBB0_200
; %bb.199:
	v_mov_b32_e32 v2, 0x35a2b3c5
	v_fmac_f32_e32 v2, 0xb3b398d8, v41
	v_mov_b32_e32 v3, 0xb7420cb6
	v_fmac_f32_e32 v3, v41, v2
	;; [unrolled: 2-line block ×8, first 2 shown]
	v_mul_f32_e32 v2, 0xbfb8aa3b, v41
	s_mov_b32 s14, 0xbfb8aa3b
	v_rndne_f32_e32 v10, v2
	v_sub_f32_e32 v11, v2, v10
	v_fma_f32 v2, v41, s14, -v2
	v_fmac_f32_e32 v2, 0xb2a5705f, v41
	v_add_f32_e32 v2, v11, v2
	v_exp_f32_e32 v2, v2
	v_cvt_i32_f32_e32 v10, v10
	s_mov_b32 s14, 0x42ce8ed0
	v_cmp_nlt_f32_e32 vcc, s14, v41
	s_mov_b32 s14, 0xc2b17218
	v_ldexp_f32 v2, v2, v10
	v_mov_b32_e32 v11, 0x3eaaaaab
	v_cndmask_b32_e32 v2, 0, v2, vcc
	v_mov_b32_e32 v10, 0x7f800000
	v_cmp_ngt_f32_e32 vcc, s14, v41
	v_fmac_f32_e32 v11, v41, v3
	v_add_f32_e32 v3, v41, v41
	v_cndmask_b32_e32 v43, v10, v2, vcc
	v_fmac_f32_e32 v43, v3, v11
	v_sub_f32_e32 v2, v43, v11
	v_div_scale_f32 v3, s[14:15], v2, v2, v11
	v_div_scale_f32 v10, vcc, v11, v2, v11
	v_rcp_f32_e32 v14, v3
	v_fma_f32 v15, -v3, v14, 1.0
	v_fmac_f32_e32 v14, v15, v14
	v_mul_f32_e32 v15, v10, v14
	v_fma_f32 v18, -v3, v15, v10
	v_fmac_f32_e32 v15, v18, v14
	v_fma_f32 v3, -v3, v15, v10
	v_div_fmas_f32 v3, v3, v14, v15
	v_div_fixup_f32 v42, v3, v2, v11
.LBB0_200:
	s_or_b64 exec, exec, s[12:13]
	v_mov_b32_e32 v10, 0
	v_mov_b32_e32 v45, 0
	;; [unrolled: 1-line block ×3, first 2 shown]
.LBB0_201:
	s_or_b64 exec, exec, s[6:7]
	s_or_b64 exec, exec, s[4:5]
                                        ; implicit-def: $vgpr41
.LBB0_202:
	s_andn2_saveexec_b64 s[6:7], s[10:11]
	s_cbranch_execz .LBB0_216
.LBB0_203:
	buffer_load_dword v2, off, s[0:3], s32 offset:324 ; 4-byte Folded Reload
                                        ; implicit-def: $vgpr46
                                        ; implicit-def: $vgpr10
                                        ; implicit-def: $vgpr43
                                        ; implicit-def: $vgpr45
                                        ; implicit-def: $vgpr44
                                        ; implicit-def: $vgpr42
	s_waitcnt vmcnt(0)
	v_cmp_lt_i32_e32 vcc, 0, v2
	s_and_saveexec_b64 s[4:5], vcc
	s_xor_b64 s[4:5], exec, s[4:5]
	s_cbranch_execz .LBB0_211
; %bb.204:
	buffer_load_dword v2, off, s[0:3], s32 offset:324 ; 4-byte Folded Reload
                                        ; implicit-def: $vgpr46
                                        ; implicit-def: $vgpr10
                                        ; implicit-def: $vgpr43
                                        ; implicit-def: $vgpr45
                                        ; implicit-def: $vgpr44
                                        ; implicit-def: $vgpr42
	s_waitcnt vmcnt(0)
	v_cmp_lt_i32_e32 vcc, 1, v2
	s_and_saveexec_b64 s[10:11], vcc
	s_xor_b64 s[10:11], exec, s[10:11]
	s_cbranch_execz .LBB0_208
; %bb.205:
	buffer_load_dword v2, off, s[0:3], s32 offset:324 ; 4-byte Folded Reload
	v_mov_b32_e32 v46, 0
	v_mov_b32_e32 v10, 0
	;; [unrolled: 1-line block ×6, first 2 shown]
	s_waitcnt vmcnt(0)
	v_cmp_eq_u32_e32 vcc, 2, v2
	s_and_saveexec_b64 s[12:13], vcc
	s_cbranch_execz .LBB0_207
; %bb.206:
	v_mov_b32_e32 v42, 0x3d774dcb
	v_mov_b32_e32 v44, 0x3f46dde5
	v_mov_b32_e32 v45, 0x40d535a8
	v_mov_b32_e32 v43, 0x3eef926a
	v_mov_b32_e32 v10, 0x3eb8b5be
	v_mov_b32_e32 v46, 0x3e2f6fb0
	v_fmac_f32_e32 v42, 0xbc182fe0, v41
	v_fmac_f32_e32 v44, 0xbdf4c255, v41
	;; [unrolled: 1-line block ×6, first 2 shown]
.LBB0_207:
	s_or_b64 exec, exec, s[12:13]
                                        ; implicit-def: $vgpr41
.LBB0_208:
	s_andn2_saveexec_b64 s[10:11], s[10:11]
	s_cbranch_execz .LBB0_210
; %bb.209:
	v_mov_b32_e32 v42, 0x3e05d48b
	v_mov_b32_e32 v44, 0x4037a2b7
	;; [unrolled: 1-line block ×4, first 2 shown]
	v_fmac_f32_e32 v42, 0xbcedeba3, v41
	v_fmac_f32_e32 v44, 0xbf233b4e, v41
	;; [unrolled: 1-line block ×4, first 2 shown]
	v_mov_b32_e32 v46, 0
	v_mov_b32_e32 v45, 0
.LBB0_210:
	s_or_b64 exec, exec, s[10:11]
                                        ; implicit-def: $vgpr41
.LBB0_211:
	s_andn2_saveexec_b64 s[10:11], s[4:5]
	s_cbranch_execz .LBB0_215
; %bb.212:
	buffer_load_dword v2, off, s[0:3], s32 offset:324 ; 4-byte Folded Reload
	v_mov_b32_e32 v46, 0
	v_mov_b32_e32 v43, 0
	;; [unrolled: 1-line block ×3, first 2 shown]
	s_waitcnt vmcnt(0)
	v_cmp_eq_u32_e32 vcc, 0, v2
	s_and_saveexec_b64 s[12:13], vcc
	s_cbranch_execz .LBB0_214
; %bb.213:
	s_mov_b32 s14, 0xc0a00000
	v_div_scale_f32 v2, s[4:5], s14, s14, v41
	s_mov_b32 s15, 0xc0400000
	v_div_scale_f32 v3, s[4:5], s15, s15, v41
	v_div_scale_f32 v10, vcc, v41, s14, v41
	v_div_scale_f32 v11, s[4:5], v41, s15, v41
	v_rcp_f32_e32 v14, v2
	v_rcp_f32_e32 v15, v3
	v_fma_f32 v18, -v2, v14, 1.0
	v_fmac_f32_e32 v14, v18, v14
	v_mul_f32_e32 v18, v10, v14
	v_fma_f32 v19, -v3, v15, 1.0
	v_fmac_f32_e32 v15, v19, v15
	v_mul_f32_e32 v19, v11, v15
	v_fma_f32 v42, -v2, v18, v10
	v_fma_f32 v43, -v3, v19, v11
	v_fmac_f32_e32 v18, v42, v14
	v_fmac_f32_e32 v19, v43, v15
	v_fma_f32 v2, -v2, v18, v10
	v_fma_f32 v3, -v3, v19, v11
	v_div_fmas_f32 v2, v2, v14, v18
	s_mov_b64 vcc, s[4:5]
	v_div_fmas_f32 v3, v3, v15, v19
	v_div_fixup_f32 v2, v2, s14, v41
	v_add_f32_e32 v42, 0.5, v2
	v_div_fixup_f32 v2, v3, s15, v41
	v_add_f32_e32 v43, 1.0, v2
.LBB0_214:
	s_or_b64 exec, exec, s[12:13]
	v_mov_b32_e32 v10, 0
	v_mov_b32_e32 v45, 0
	;; [unrolled: 1-line block ×3, first 2 shown]
.LBB0_215:
	s_or_b64 exec, exec, s[10:11]
.LBB0_216:
	s_or_b64 exec, exec, s[6:7]
	v_cmp_lt_i32_e32 vcc, 1, v40
	buffer_store_dword v42, off, s[0:3], s32 offset:64
	buffer_store_dword v43, off, s[0:3], s32 offset:96
	s_and_saveexec_b64 s[4:5], vcc
	s_cbranch_execz .LBB0_218
; %bb.217:
	buffer_store_dword v44, off, s[0:3], s32 offset:68
	buffer_store_dword v10, off, s[0:3], s32 offset:100
.LBB0_218:
	s_or_b64 exec, exec, s[4:5]
	v_cmp_lt_i32_e32 vcc, 3, v40
	s_and_saveexec_b64 s[4:5], vcc
	s_cbranch_execz .LBB0_220
; %bb.219:
	buffer_store_dword v45, off, s[0:3], s32 offset:72
	buffer_store_dword v46, off, s[0:3], s32 offset:104
.LBB0_220:
	s_or_b64 exec, exec, s[4:5]
.LBB0_221:
	s_or_b64 exec, exec, s[8:9]
	v_cmp_lt_i32_e32 vcc, -2, v40
	v_mov_b32_e32 v40, 0
	s_and_saveexec_b64 s[6:7], vcc
	s_cbranch_execz .LBB0_363
; %bb.222:
	v_mul_f32_e32 v2, v52, v53
	v_div_scale_f32 v10, s[4:5], v17, v17, v2
	v_div_scale_f32 v11, vcc, v2, v17, v2
	v_div_scale_f32 v3, s[4:5], v16, v16, 0.5
	v_div_scale_f32 v15, s[4:5], 0.5, v16, 0.5
                                        ; implicit-def: $vgpr62 : SGPR spill to VGPR lane
	s_mov_b32 s8, 0xf800000
	v_writelane_b32 v62, s6, 0
	v_writelane_b32 v62, s7, 1
	v_div_scale_f32 v18, s[6:7], v17, v17, 0.5
	v_cmp_gt_f32_e64 s[6:7], s8, v55
	v_mul_f32_e64 v49, v49, -v50
	v_div_scale_f32 v50, s[10:11], v16, v16, v49
	v_rcp_f32_e32 v52, v10
	v_mul_f32_e32 v14, 0x4f800000, v55
	v_cndmask_b32_e64 v14, v55, v14, s[6:7]
	v_rcp_f32_e32 v19, v3
	v_fma_f32 v40, -v10, v52, 1.0
	v_fmac_f32_e32 v52, v40, v52
	v_mul_f32_e32 v40, v11, v52
	v_fma_f32 v41, -v10, v40, v11
	v_fmac_f32_e32 v40, v41, v52
	v_fma_f32 v10, -v10, v40, v11
	v_div_scale_f32 v11, s[8:9], 0.5, v17, 0.5
	v_fma_f32 v55, -v3, v19, 1.0
	v_fmac_f32_e32 v19, v55, v19
	v_div_fmas_f32 v10, v10, v52, v40
	v_mul_f32_e32 v52, v15, v19
	v_fma_f32 v55, -v3, v52, v15
	v_fmac_f32_e32 v52, v55, v19
	v_div_scale_f32 v55, s[10:11], v49, v16, v49
	v_rcp_f32_e32 v40, v18
	v_fma_f32 v3, -v3, v52, v15
	s_mov_b64 vcc, s[4:5]
	v_div_fmas_f32 v15, v3, v19, v52
	v_fma_f32 v3, -v18, v40, 1.0
	v_fmac_f32_e32 v40, v3, v40
	v_mul_f32_e32 v3, v11, v40
	v_fma_f32 v19, -v18, v3, v11
	v_fmac_f32_e32 v3, v19, v40
	v_rcp_f32_e32 v19, v50
	v_fma_f32 v11, -v18, v3, v11
	s_mov_b64 vcc, s[8:9]
	v_div_fmas_f32 v11, v11, v40, v3
	v_fma_f32 v3, -v50, v19, 1.0
	v_fmac_f32_e32 v19, v3, v19
	v_mul_f32_e32 v3, v55, v19
	v_fma_f32 v18, -v50, v3, v55
	v_fmac_f32_e32 v3, v18, v19
	v_fma_f32 v18, -v50, v3, v55
	s_mov_b64 vcc, s[10:11]
	v_div_fmas_f32 v18, v18, v19, v3
	v_sqrt_f32_e32 v53, v14
	v_div_fixup_f32 v3, v10, v17, v2
	v_sub_f32_e32 v48, v34, v48
	v_sub_f32_e32 v38, v33, v38
	v_add_u32_e32 v2, -1, v53
	v_fma_f32 v10, -v2, v53, v14
	v_cmp_ge_f32_e32 vcc, 0, v10
	v_add_u32_e32 v10, 1, v53
	v_fma_f32 v19, -v10, v53, v14
	v_cndmask_b32_e32 v2, v53, v2, vcc
	v_cmp_lt_f32_e32 vcc, 0, v19
	v_cndmask_b32_e32 v2, v2, v10, vcc
	v_mul_f32_e32 v10, 0x37800000, v2
	v_cndmask_b32_e64 v2, v2, v10, s[6:7]
	v_mul_f32_e32 v19, v48, v3
	v_div_fixup_f32 v10, v18, v16, v49
	v_mul_f32_e32 v18, v38, v10
	v_mul_f32_e32 v19, v48, v19
	v_fma_f32 v18, v38, v18, -v19
	s_mov_b32 s82, 0x3fb8aa3b
	v_mul_f32_e32 v19, 0x3fb8aa3b, v18
	v_fma_f32 v49, v18, s82, -v19
	v_rndne_f32_e32 v50, v19
	v_fmac_f32_e32 v49, 0x32a5705f, v18
	v_sub_f32_e32 v19, v19, v50
	v_add_f32_e32 v19, v19, v49
	v_exp_f32_e32 v19, v19
	v_cvt_i32_f32_e32 v49, v50
	v_mov_b32_e32 v50, 0x260
	v_cmp_class_f32_e32 vcc, v14, v50
	s_mov_b32 s83, 0xc2ce8ed0
	v_cndmask_b32_e32 v2, v2, v14, vcc
	v_ldexp_f32 v14, v19, v49
	v_cmp_ngt_f32_e32 vcc, s83, v18
	s_mov_b32 s84, 0x42b17218
	v_cndmask_b32_e32 v14, 0, v14, vcc
	v_mov_b32_e32 v49, 0x7f800000
	v_cmp_nlt_f32_e32 vcc, s84, v18
	v_cndmask_b32_e32 v14, v49, v14, vcc
	v_mul_f32_e32 v14, 0x40490fdb, v14
	v_div_scale_f32 v18, s[4:5], v2, v2, v14
	v_div_scale_f32 v19, vcc, v14, v2, v14
	v_div_fixup_f32 v9, v15, v16, 0.5
	buffer_store_dword v9, off, s[0:3], s32 offset:344 ; 4-byte Folded Spill
	v_div_fixup_f32 v9, v11, v17, 0.5
	v_sub_f32_e32 v11, v54, v33
	v_sub_f32_e32 v54, v54, v34
	v_sub_f32_e32 v32, v25, v32
	buffer_store_dword v9, off, s[0:3], s32 offset:348 ; 4-byte Folded Spill
	v_sub_f32_e32 v9, v51, v33
	v_mul_f32_e32 v33, v17, v11
	v_mul_f32_e32 v42, v17, v54
	v_sub_f32_e32 v11, v51, v34
	v_sub_f32_e32 v30, v21, v30
	v_rcp_f32_e32 v50, v18
	v_fmac_f32_e32 v42, v16, v11
	v_mul_f32_e32 v11, v30, v10
	s_lshr_b32 s34, s32, 6
	v_fma_f32 v52, -v18, v50, 1.0
	v_fmac_f32_e32 v50, v52, v50
	v_mul_f32_e32 v52, v19, v50
	v_fma_f32 v53, -v18, v52, v19
	v_fmac_f32_e32 v52, v53, v50
	v_fma_f32 v18, -v18, v52, v19
	v_div_fmas_f32 v18, v18, v50, v52
	s_addk_i32 s34, 0x80
	s_lshr_b32 s8, s32, 6
	s_addk_i32 s8, 0x80
	s_or_b32 s87, s8, 4
	v_lshlrev_b32_e32 v19, 2, v29
	v_sub_f32_e32 v26, v20, v26
	v_mul_f32_e32 v10, v26, v10
	v_add_u32_e32 v53, v4, v22
	v_sub_f32_e32 v43, v37, v21
	v_fmac_f32_e32 v33, v16, v9
	v_add_u32_e32 v55, v1, v29
	v_add_u32_e32 v29, v5, v13
	v_add_u32_e32 v51, v7, v24
	v_cmp_lt_i32_e64 s[4:5], 0, v53
	v_cmp_lt_i32_e64 s[6:7], 0, v55
	v_div_fixup_f32 v34, v18, v2, v14
	v_mul_f32_e32 v14, v32, v3
	v_mul_f32_e32 v14, v32, v14
	v_fma_f32 v11, v30, v11, -v14
	v_mul_f32_e32 v14, 0x3fb8aa3b, v11
	v_fma_f32 v15, v11, s82, -v14
	v_rndne_f32_e32 v18, v14
	v_fmac_f32_e32 v15, 0x32a5705f, v11
	v_sub_f32_e32 v14, v14, v18
	v_add_f32_e32 v14, v14, v15
	v_exp_f32_e32 v14, v14
	v_cvt_i32_f32_e32 v15, v18
	v_cmp_ngt_f32_e32 vcc, s83, v11
	v_mul_lo_u32 v18, v22, 28
	v_cmp_lt_i32_e64 s[24:25], 0, v29
	v_ldexp_f32 v14, v14, v15
	v_cndmask_b32_e32 v14, 0, v14, vcc
	v_cmp_nlt_f32_e32 vcc, s84, v11
	v_cndmask_b32_e32 v11, v49, v14, vcc
	v_mul_f32_e32 v11, 0x40490fdb, v11
	v_div_scale_f32 v14, s[8:9], v2, v2, v11
	v_div_scale_f32 v15, vcc, v11, v2, v11
	v_add3_u32 v28, s34, v19, v18
	v_cmp_lt_i32_e64 s[8:9], 1, v53
	v_writelane_b32 v62, s8, 2
	v_writelane_b32 v62, s9, 3
	v_sub_f32_e32 v19, v39, v21
	v_sub_f32_e32 v39, v39, v25
	v_cmp_lt_i32_e64 s[26:27], 0, v51
	v_mov_b32_e32 v40, 0
	s_mov_b32 s85, 0x7f800000
	s_mov_b32 s86, 0
	v_cmp_lt_i32_e64 s[10:11], 1, v55
	s_and_b64 s[50:51], s[4:5], s[6:7]
	v_rcp_f32_e32 v18, v14
	v_cmp_lt_i32_e64 s[12:13], -1, v1
	v_cmp_lt_i32_e64 s[14:15], -1, v4
	v_cmp_lt_i32_e64 s[16:17], 1, v4
	v_fma_f32 v27, -v14, v18, 1.0
	v_fmac_f32_e32 v18, v27, v18
	v_mul_f32_e32 v44, v15, v18
	v_fma_f32 v27, -v14, v44, v15
	v_fmac_f32_e32 v44, v27, v18
	v_sub_f32_e32 v27, v23, v31
	v_mul_f32_e32 v3, v27, v3
	v_mul_f32_e32 v3, v27, v3
	v_fma_f32 v3, v26, v10, -v3
	v_mul_f32_e32 v10, 0x3fb8aa3b, v3
	v_fma_f32 v31, v3, s82, -v10
	v_rndne_f32_e32 v45, v10
	v_fmac_f32_e32 v31, 0x32a5705f, v3
	v_sub_f32_e32 v10, v10, v45
	v_add_f32_e32 v10, v10, v31
	v_exp_f32_e32 v10, v10
	v_cvt_i32_f32_e32 v31, v45
	v_fma_f32 v14, -v14, v44, v15
	v_div_fmas_f32 v14, v14, v18, v44
	v_cmp_ngt_f32_e32 vcc, s83, v3
	v_ldexp_f32 v10, v10, v31
	v_cndmask_b32_e32 v10, 0, v10, vcc
	v_cmp_nlt_f32_e32 vcc, s84, v3
	v_cndmask_b32_e32 v3, v49, v10, vcc
	v_mul_f32_e32 v3, 0x40490fdb, v3
	v_div_scale_f32 v10, s[8:9], v2, v2, v3
	v_div_scale_f32 v15, vcc, v3, v2, v3
	v_sub_f32_e32 v18, v37, v25
	v_mul_f32_e32 v44, v17, v39
	v_fmac_f32_e32 v44, v16, v18
	v_mul_f32_e32 v31, v17, v19
	v_sub_f32_e32 v45, v35, v20
	v_div_fixup_f32 v25, v14, v2, v11
	v_fmac_f32_e32 v31, v16, v43
	v_add_u32_e32 v37, v8, v0
	v_cmp_lt_i32_e64 s[72:73], 0, v37
	v_lshlrev_b32_e32 v0, 2, v0
	v_cmp_eq_f32_e64 s[18:19], 1.0, v38
	v_cmp_lt_u32_e64 s[20:21], 1, v1
	v_rcp_f32_e32 v11, v10
	v_cmp_eq_f32_e64 s[22:23], 1.0, v48
	v_cmp_lt_i32_e64 s[28:29], 1, v29
	v_cmp_lt_i32_e64 s[40:41], 1, v51
	v_fma_f32 v14, -v10, v11, 1.0
	v_fmac_f32_e32 v11, v14, v11
	v_mul_f32_e32 v14, v15, v11
	v_fma_f32 v18, -v10, v14, v15
	v_fmac_f32_e32 v14, v18, v11
	v_fma_f32 v10, -v10, v14, v15
	v_div_fmas_f32 v10, v10, v11, v14
	v_mul_lo_u32 v11, v13, 28
	v_lshlrev_b32_e32 v14, 2, v24
	v_add_u32_e32 v24, v6, v12
	v_cmp_lt_i32_e64 s[62:63], 0, v24
	v_add3_u32 v22, s34, v14, v11
	v_sub_f32_e32 v11, v36, v20
	v_sub_f32_e32 v36, v36, v23
	v_mul_f32_e32 v21, v17, v11
	v_mul_f32_e32 v17, v17, v36
	v_sub_f32_e32 v11, v35, v23
	v_fmac_f32_e32 v21, v16, v45
	v_fmac_f32_e32 v17, v16, v11
	s_and_b64 s[52:53], s[24:25], s[26:27]
	v_cmp_lt_i32_e64 s[42:43], -1, v7
	v_cmp_lt_i32_e64 s[44:45], -1, v5
	v_div_fixup_f32 v16, v10, v2, v3
	v_mul_lo_u32 v2, v12, 28
	v_cmp_lt_i32_e64 s[46:47], 1, v5
	v_cmp_eq_f32_e64 s[56:57], 1.0, v30
	v_cmp_lt_u32_e64 s[58:59], 1, v7
	v_cmp_eq_f32_e64 s[60:61], 1.0, v32
	v_cmp_lt_i32_e64 s[74:75], 1, v24
	v_cmp_lt_i32_e64 s[76:77], 1, v37
	s_and_b64 s[54:55], s[62:63], s[72:73]
	v_cmp_lt_i32_e64 s[78:79], -1, v8
	v_cmp_lt_i32_e64 s[88:89], -1, v6
	v_cmp_lt_i32_e64 s[90:91], 1, v6
	v_cmp_eq_f32_e64 s[92:93], 1.0, v26
	v_cmp_lt_u32_e64 s[94:95], 1, v8
	v_cmp_eq_f32_e64 s[30:31], 1.0, v27
	v_add3_u32 v20, s34, v0, v2
	s_mov_b64 s[64:65], 0
	s_mov_b32 s96, 0x3f2aaaab
	v_mov_b32_e32 v23, 0x3ecccdef
	s_mov_b32 s97, 0x3f317218
	s_movk_i32 s98, 0x204
	s_brev_b32 s99, -2
	v_mov_b32_e32 v35, 0x37000000
	v_mov_b32_e32 v46, 0x7fc00000
	buffer_store_dword v9, off, s[0:3], s32 offset:352 ; 4-byte Folded Spill
	s_branch .LBB0_225
.LBB0_223:                              ;   in Loop: Header=BB0_225 Depth=1
	s_or_b64 exec, exec, s[68:69]
.LBB0_224:                              ;   in Loop: Header=BB0_225 Depth=1
	s_or_b64 exec, exec, s[66:67]
	v_lshrrev_b32_e64 v2, 6, s32
	v_add_u32_e32 v0, s48, v2
	v_mov_b32_e32 v2, 0x60
	v_add_u32_e32 v0, v2, v0
	buffer_load_dword v0, v0, s[0:3], 0 offen
	v_mul_f32_e32 v2, v47, v60
	buffer_load_dword v3, off, s[0:3], s32 offset:324 ; 4-byte Folded Reload
	s_add_i32 s8, s86, 1
	v_mul_f32_e32 v2, v2, v56
	s_waitcnt vmcnt(1)
	v_fmac_f32_e32 v40, v2, v0
	s_waitcnt vmcnt(0)
	v_cmp_eq_u32_e32 vcc, s86, v3
	s_or_b64 s[64:65], vcc, s[64:65]
	s_mov_b32 s86, s8
	s_andn2_b64 exec, exec, s[64:65]
	s_cbranch_execz .LBB0_362
.LBB0_225:                              ; =>This Loop Header: Depth=1
                                        ;     Child Loop BB0_231 Depth 2
                                        ;     Child Loop BB0_234 Depth 2
                                        ;     Child Loop BB0_238 Depth 2
                                        ;       Child Loop BB0_240 Depth 3
                                        ;     Child Loop BB0_244 Depth 2
                                        ;       Child Loop BB0_247 Depth 3
                                        ;         Child Loop BB0_249 Depth 4
                                        ;         Child Loop BB0_253 Depth 4
                                        ;         Child Loop BB0_256 Depth 4
                                        ;       Child Loop BB0_260 Depth 3
                                        ;       Child Loop BB0_265 Depth 3
                                        ;       Child Loop BB0_268 Depth 3
                                        ;     Child Loop BB0_277 Depth 2
                                        ;     Child Loop BB0_280 Depth 2
                                        ;     Child Loop BB0_284 Depth 2
                                        ;       Child Loop BB0_286 Depth 3
                                        ;     Child Loop BB0_290 Depth 2
                                        ;       Child Loop BB0_293 Depth 3
                                        ;         Child Loop BB0_295 Depth 4
                                        ;         Child Loop BB0_299 Depth 4
                                        ;         Child Loop BB0_302 Depth 4
                                        ;       Child Loop BB0_306 Depth 3
                                        ;       Child Loop BB0_311 Depth 3
                                        ;       Child Loop BB0_314 Depth 3
	;; [unrolled: 12-line block ×3, first 2 shown]
	s_lshl_b32 s48, s86, 2
	v_lshrrev_b32_e64 v2, 6, s32
	v_add_u32_e32 v0, s48, v2
	v_add_u32_e32 v0, 64, v0
	buffer_load_dword v0, v0, s[0:3], 0 offen
	s_nop 0
	buffer_load_dword v9, off, s[0:3], s32 offset:340 ; 4-byte Folded Reload
	s_waitcnt vmcnt(1)
	v_add_f32_e32 v2, 1.0, v0
	v_div_scale_f32 v3, s[8:9], v2, v2, 1.0
	v_mul_f32_e32 v0, 0.5, v0
	buffer_store_dword v34, off, s[0:3], s32 offset:128
	v_rcp_f32_e32 v10, v3
	v_fma_f32 v11, -v3, v10, 1.0
	v_fmac_f32_e32 v10, v11, v10
	v_div_scale_f32 v11, vcc, 1.0, v2, 1.0
	v_mul_f32_e32 v14, v11, v10
	v_fma_f32 v15, -v3, v14, v11
	v_fmac_f32_e32 v14, v15, v10
	v_fma_f32 v3, -v3, v14, v11
	v_div_fmas_f32 v3, v3, v10, v14
	v_div_fixup_f32 v57, v3, v2, 1.0
	s_waitcnt vmcnt(1)
	v_div_scale_f32 v2, s[8:9], v9, v9, v0
	v_rcp_f32_e32 v3, v2
	v_fma_f32 v10, -v2, v3, 1.0
	v_fmac_f32_e32 v3, v10, v3
	v_div_scale_f32 v10, vcc, v0, v9, v0
	v_mul_f32_e32 v11, v10, v3
	v_fma_f32 v14, -v2, v11, v10
	v_fmac_f32_e32 v11, v14, v3
	v_fma_f32 v2, -v2, v11, v10
	v_div_fmas_f32 v2, v2, v3, v11
	v_div_fixup_f32 v0, v2, v9, v0
	v_mul_f32_e32 v56, v0, v57
	buffer_load_dword v0, off, s[0:3], s32 offset:352 ; 4-byte Folded Reload
	s_waitcnt vmcnt(0)
	v_mul_f32_e32 v0, v0, v57
	v_cvt_f64_f32_e32 v[2:3], v0
	v_mul_f32_e32 v0, v33, v56
	v_cvt_f64_f32_e32 v[10:11], v0
	v_fma_f64 v[2:3], v[10:11], 2.0, v[2:3]
	v_cvt_f32_f64_e32 v2, v[2:3]
	s_and_saveexec_b64 vcc, s[4:5]
	s_cbranch_execz .LBB0_227
; %bb.226:                              ;   in Loop: Header=BB0_225 Depth=1
	v_mul_f32_e32 v0, v34, v2
	buffer_store_dword v0, off, s[0:3], s32 offset:156
.LBB0_227:                              ;   in Loop: Header=BB0_225 Depth=1
	s_or_b64 exec, exec, vcc
	v_mul_f32_e32 v0, v54, v57
	v_cvt_f64_f32_e32 v[10:11], v0
	v_mul_f32_e32 v0, v42, v56
	v_cvt_f64_f32_e32 v[14:15], v0
	v_fma_f64 v[10:11], v[14:15], 2.0, v[10:11]
	v_cvt_f32_f64_e32 v0, v[10:11]
	s_and_saveexec_b64 vcc, s[6:7]
	s_cbranch_execz .LBB0_229
; %bb.228:                              ;   in Loop: Header=BB0_225 Depth=1
	v_mul_f32_e32 v3, v34, v0
	buffer_store_dword v3, off, s[0:3], s32 offset:132
.LBB0_229:                              ;   in Loop: Header=BB0_225 Depth=1
	s_or_b64 exec, exec, vcc
	buffer_load_dword v3, off, s[0:3], s32 offset:344 ; 4-byte Folded Reload
	s_waitcnt vmcnt(0)
	v_fma_f32 v59, v3, v57, v56
	s_mov_b64 s[34:35], exec
	v_readlane_b32 s8, v62, 2
	v_readlane_b32 s9, v62, 3
	s_and_b64 s[8:9], s[34:35], s[8:9]
	s_mov_b64 exec, s[8:9]
	s_cbranch_execz .LBB0_232
; %bb.230:                              ;   in Loop: Header=BB0_225 Depth=1
	buffer_load_dword v3, off, s[0:3], s32 offset:156
	s_lshr_b32 s8, s32, 6
	s_addk_i32 s8, 0x80
	s_mov_b32 s9, 1
	s_mov_b64 s[36:37], 0
.LBB0_231:                              ;   Parent Loop BB0_225 Depth=1
                                        ; =>  This Inner Loop Header: Depth=2
	v_mov_b32_e32 v10, s8
	buffer_load_dword v11, v10, s[0:3], 0 offen
	v_cvt_f32_i32_e32 v14, s9
	s_add_i32 s9, s9, 1
	s_add_i32 s8, s8, 28
	v_cmp_eq_u32_e32 vcc, s9, v53
	v_mul_f32_e32 v14, v59, v14
	s_or_b64 s[36:37], vcc, s[36:37]
	s_waitcnt vmcnt(0)
	v_mul_f32_e32 v11, v11, v14
	v_fmac_f32_e32 v11, v3, v2
	v_mov_b32_e32 v3, v11
	buffer_store_dword v11, v10, s[0:3], 0 offen offset:56
	s_andn2_b64 exec, exec, s[36:37]
	s_cbranch_execnz .LBB0_231
.LBB0_232:                              ;   in Loop: Header=BB0_225 Depth=1
	s_or_b64 exec, exec, s[34:35]
	buffer_load_dword v2, off, s[0:3], s32 offset:348 ; 4-byte Folded Reload
	s_waitcnt vmcnt(0)
	v_fma_f32 v58, v2, v57, v56
	s_and_saveexec_b64 s[34:35], s[10:11]
	s_cbranch_execz .LBB0_235
; %bb.233:                              ;   in Loop: Header=BB0_225 Depth=1
	buffer_load_dword v2, off, s[0:3], s32 offset:132
	s_lshr_b32 s8, s32, 6
	s_addk_i32 s8, 0x80
	s_mov_b32 s9, 1
	s_mov_b64 s[36:37], 0
.LBB0_234:                              ;   Parent Loop BB0_225 Depth=1
                                        ; =>  This Inner Loop Header: Depth=2
	v_mov_b32_e32 v3, s8
	buffer_load_dword v10, v3, s[0:3], 0 offen
	v_cvt_f32_i32_e32 v11, s9
	s_add_i32 s9, s9, 1
	s_add_i32 s8, s8, 4
	v_cmp_eq_u32_e32 vcc, s9, v55
	v_mul_f32_e32 v11, v58, v11
	s_or_b64 s[36:37], vcc, s[36:37]
	s_waitcnt vmcnt(0)
	v_mul_f32_e32 v10, v10, v11
	v_fmac_f32_e32 v10, v2, v0
	v_mov_b32_e32 v2, v10
	buffer_store_dword v10, v3, s[0:3], 0 offen offset:8
	s_andn2_b64 exec, exec, s[36:37]
	s_cbranch_execnz .LBB0_234
.LBB0_235:                              ;   in Loop: Header=BB0_225 Depth=1
	s_or_b64 exec, exec, s[34:35]
	s_and_saveexec_b64 s[34:35], s[50:51]
	s_cbranch_execz .LBB0_241
; %bb.236:                              ;   in Loop: Header=BB0_225 Depth=1
	s_mov_b32 s9, 1
	s_mov_b64 s[36:37], 0
	s_mov_b32 s8, s87
	s_branch .LBB0_238
.LBB0_237:                              ;   in Loop: Header=BB0_238 Depth=2
	s_or_b64 exec, exec, s[38:39]
	s_add_i32 s38, s9, 1
	s_add_i32 s8, s8, 28
	v_cmp_eq_u32_e32 vcc, s9, v53
	s_or_b64 s[36:37], vcc, s[36:37]
	s_mov_b32 s9, s38
	s_andn2_b64 exec, exec, s[36:37]
	s_cbranch_execz .LBB0_241
.LBB0_238:                              ;   Parent Loop BB0_225 Depth=1
                                        ; =>  This Loop Header: Depth=2
                                        ;       Child Loop BB0_240 Depth 3
	s_mul_i32 vcc_lo, s9, 28
	s_lshr_b32 s38, s32, 6
	s_add_i32 vcc_lo, s38, vcc_lo
	s_addk_i32 vcc_lo, 0x80
	s_sub_i32 vcc_hi, vcc_lo, 28
	v_mov_b32_e32 v10, vcc_lo
	v_mov_b32_e32 v2, vcc_hi
	buffer_load_dword v3, v10, s[0:3], 0 offen
	buffer_load_dword v11, v2, s[0:3], 0 offen
	v_cvt_f32_u32_e32 v2, s9
	v_mul_f32_e32 v2, v56, v2
	s_waitcnt vmcnt(1)
	v_mul_f32_e32 v3, v3, v0
	s_waitcnt vmcnt(0)
	v_fmac_f32_e32 v3, v11, v2
	buffer_store_dword v3, v10, s[0:3], 0 offen offset:4
	s_and_saveexec_b64 s[38:39], s[10:11]
	s_cbranch_execz .LBB0_237
; %bb.239:                              ;   in Loop: Header=BB0_238 Depth=2
	s_mov_b32 s49, 1
	s_mov_b64 s[66:67], 0
	s_mov_b32 s68, s8
.LBB0_240:                              ;   Parent Loop BB0_225 Depth=1
                                        ;     Parent Loop BB0_238 Depth=2
                                        ; =>    This Inner Loop Header: Depth=3
	v_mov_b32_e32 v10, s68
	buffer_load_dword v11, v10, s[0:3], 0 offen offset:24
	buffer_load_dword v14, v10, s[0:3], 0 offen
	v_cvt_f32_i32_e32 v15, s49
	s_add_i32 s49, s49, 1
	s_add_i32 s68, s68, 4
	v_cmp_eq_u32_e32 vcc, s49, v55
	v_mul_f32_e32 v15, v58, v15
	s_or_b64 s[66:67], vcc, s[66:67]
	s_waitcnt vmcnt(1)
	v_mul_f32_e32 v11, v11, v15
	s_waitcnt vmcnt(0)
	v_fmac_f32_e32 v11, v2, v14
	v_fmac_f32_e32 v11, v3, v0
	v_mov_b32_e32 v3, v11
	buffer_store_dword v11, v10, s[0:3], 0 offen offset:32
	s_andn2_b64 exec, exec, s[66:67]
	s_cbranch_execnz .LBB0_240
	s_branch .LBB0_237
.LBB0_241:                              ;   in Loop: Header=BB0_225 Depth=1
	s_or_b64 exec, exec, s[34:35]
	v_mov_b32_e32 v47, 0
	s_and_saveexec_b64 s[66:67], s[12:13]
	s_cbranch_execz .LBB0_271
; %bb.242:                              ;   in Loop: Header=BB0_225 Depth=1
	v_mov_b32_e32 v47, 0
	s_mov_b32 s49, 0
	s_mov_b64 s[68:69], 0
	v_add_u32_e32 v60, -1, v1
	s_branch .LBB0_244
.LBB0_243:                              ;   in Loop: Header=BB0_244 Depth=2
	s_or_b64 exec, exec, s[34:35]
	v_mul_lo_u32 v3, v3, s8
	v_sub_u32_e32 v11, 0, v0
	v_cvt_f32_i32_e32 v2, v2
	v_add_u32_e32 v60, -1, v60
	v_xor_b32_e32 v10, v0, v3
	v_max_i32_e32 v0, v0, v11
	v_sub_u32_e32 v11, 0, v3
	v_max_i32_e32 v3, v3, v11
	v_cvt_f32_u32_e32 v11, v3
	v_sub_u32_e32 v14, 0, v3
	v_cndmask_b32_e64 v2, v2, 1.0, s[22:23]
	v_ashrrev_i32_e32 v10, 31, v10
	v_rcp_iflag_f32_e32 v11, v11
	v_cmp_gt_f32_e64 s[38:39], 0, v2
	v_mul_f32_e32 v11, 0x4f7ffffe, v11
	v_cvt_u32_f32_e32 v11, v11
	v_mul_lo_u32 v14, v14, v11
	v_mul_hi_u32 v14, v11, v14
	v_add_u32_e32 v11, v11, v14
	v_mul_hi_u32 v11, v0, v11
	v_mul_lo_u32 v14, v11, v3
	v_sub_u32_e32 v0, v0, v14
	v_cmp_ge_u32_e32 vcc, v0, v3
	v_add_u32_e32 v14, 1, v11
	v_cndmask_b32_e32 v11, v11, v14, vcc
	v_sub_u32_e32 v14, v0, v3
	v_cndmask_b32_e32 v0, v0, v14, vcc
	v_cmp_ge_u32_e32 vcc, v0, v3
	v_add_u32_e32 v0, 1, v11
	v_cndmask_b32_e32 v0, v11, v0, vcc
	v_cmp_neq_f32_e32 vcc, 0, v2
	v_xor_b32_e32 v0, v0, v10
	v_cndmask_b32_e32 v3, 1.0, v48, vcc
	v_sub_u32_e32 v0, v0, v10
	v_frexp_mant_f32_e64 v10, |v3|
	v_cmp_gt_f32_e32 vcc, s96, v10
	v_cndmask_b32_e64 v11, 1.0, 2.0, vcc
	v_mul_f32_e32 v10, v10, v11
	v_add_f32_e32 v14, 1.0, v10
	v_add_f32_e32 v15, -1.0, v14
	v_add_f32_e32 v11, -1.0, v10
	v_sub_f32_e32 v10, v10, v15
	v_rcp_f32_e32 v15, v14
	v_cmp_gt_f32_e64 s[36:37], 0, v3
	v_cmp_class_f32_e64 s[8:9], v3, s98
	v_cvt_f32_i32_e32 v0, v0
	v_mul_f32_e32 v18, v11, v15
	v_mul_f32_e32 v19, v14, v18
	v_fma_f32 v14, v18, v14, -v19
	v_fmac_f32_e32 v14, v18, v10
	v_add_f32_e32 v10, v19, v14
	v_sub_f32_e32 v12, v11, v10
	v_sub_f32_e32 v19, v10, v19
	;; [unrolled: 1-line block ×5, first 2 shown]
	v_add_f32_e32 v10, v11, v10
	v_add_f32_e32 v10, v12, v10
	v_mul_f32_e32 v11, v15, v10
	v_add_f32_e32 v10, v18, v11
	v_sub_f32_e32 v12, v10, v18
	v_sub_f32_e32 v11, v11, v12
	v_mul_f32_e32 v12, v10, v10
	v_fma_f32 v14, v10, v10, -v12
	v_add_f32_e32 v15, v11, v11
	v_fmac_f32_e32 v14, v10, v15
	v_add_f32_e32 v15, v12, v14
	v_sub_f32_e32 v12, v15, v12
	v_sub_f32_e32 v12, v14, v12
	v_mul_f32_e32 v14, v10, v15
	v_fma_f32 v19, v15, v10, -v14
	v_fmac_f32_e32 v19, v15, v11
	v_mov_b32_e32 v18, 0x3e91f4c4
	v_fmac_f32_e32 v19, v12, v10
	v_fmac_f32_e32 v18, 0x3e76c4e1, v15
	v_add_f32_e32 v13, v14, v19
	v_fma_f32 v18, v15, v18, v23
	v_sub_f32_e32 v14, v13, v14
	v_sub_f32_e32 v14, v19, v14
	v_mul_f32_e32 v19, v15, v18
	v_fma_f32 v15, v15, v18, -v19
	v_fmac_f32_e32 v15, v12, v18
	v_add_f32_e32 v12, v19, v15
	v_add_f32_e32 v18, 0x3f2aaaaa, v12
	v_sub_f32_e32 v19, v12, v19
	v_sub_f32_e32 v15, v15, v19
	v_add_f32_e32 v19, 0xbf2aaaaa, v18
	v_add_f32_e32 v15, 0x31739010, v15
	v_sub_f32_e32 v12, v12, v19
	v_add_f32_e32 v12, v15, v12
	v_add_f32_e32 v15, v18, v12
	v_sub_f32_e32 v18, v18, v15
	v_add_f32_e32 v12, v12, v18
	v_mul_f32_e32 v18, v13, v15
	v_fma_f32 v19, v13, v15, -v18
	v_fmac_f32_e32 v19, v13, v12
	v_fmac_f32_e32 v19, v14, v15
	v_cvt_f64_f32_e64 v[14:15], |v3|
	v_ldexp_f32 v10, v10, 1
	v_ldexp_f32 v11, v11, 1
	v_frexp_exp_i32_f64_e32 v12, v[14:15]
	v_subbrev_co_u32_e32 v12, vcc, 0, v12, vcc
	v_cvt_f32_i32_e32 v12, v12
	v_mul_f32_e32 v13, 0x3f317218, v12
	v_fma_f32 v14, v12, s97, -v13
	v_fmac_f32_e32 v14, 0xb102e308, v12
	v_add_f32_e32 v12, v13, v14
	v_sub_f32_e32 v13, v12, v13
	v_sub_f32_e32 v13, v14, v13
	v_add_f32_e32 v14, v18, v19
	v_sub_f32_e32 v15, v14, v18
	v_add_f32_e32 v18, v10, v14
	v_sub_f32_e32 v15, v19, v15
	v_sub_f32_e32 v10, v18, v10
	;; [unrolled: 1-line block ×3, first 2 shown]
	v_add_f32_e32 v11, v11, v15
	v_add_f32_e32 v10, v11, v10
	;; [unrolled: 1-line block ×3, first 2 shown]
	v_sub_f32_e32 v14, v11, v18
	v_sub_f32_e32 v10, v10, v14
	v_add_f32_e32 v14, v12, v11
	v_sub_f32_e32 v15, v14, v12
	v_sub_f32_e32 v18, v14, v15
	;; [unrolled: 1-line block ×4, first 2 shown]
	v_add_f32_e32 v11, v11, v12
	v_add_f32_e32 v12, v13, v10
	v_sub_f32_e32 v15, v12, v13
	v_sub_f32_e32 v18, v12, v15
	v_add_f32_e32 v11, v12, v11
	v_sub_f32_e32 v13, v13, v18
	v_sub_f32_e32 v10, v10, v15
	v_add_f32_e32 v12, v14, v11
	v_add_f32_e32 v10, v10, v13
	v_sub_f32_e32 v13, v12, v14
	v_sub_f32_e32 v11, v11, v13
	v_add_f32_e32 v10, v10, v11
	v_add_f32_e32 v11, v12, v10
	v_sub_f32_e32 v12, v11, v12
	v_sub_f32_e32 v10, v10, v12
	v_mul_f32_e32 v12, v2, v11
	v_fma_f32 v11, v2, v11, -v12
	v_fmac_f32_e32 v11, v2, v10
	v_add_f32_e32 v10, v12, v11
	v_cmp_class_f32_e64 vcc, v12, s98
	v_sub_f32_e32 v13, v10, v12
	v_cndmask_b32_e32 v10, v10, v12, vcc
	v_sub_f32_e32 v11, v11, v13
	v_cmp_neq_f32_e64 vcc, |v10|, s85
	v_cndmask_b32_e32 v11, 0, v11, vcc
	v_cmp_eq_f32_e32 vcc, s84, v10
	v_cndmask_b32_e32 v12, 0, v35, vcc
	v_sub_f32_e32 v10, v10, v12
	v_add_f32_e32 v11, v12, v11
	v_mul_f32_e32 v12, 0x3fb8aa3b, v10
	v_fma_f32 v13, v10, s82, -v12
	v_rndne_f32_e32 v14, v12
	v_fmac_f32_e32 v13, 0x32a5705f, v10
	v_sub_f32_e32 v12, v12, v14
	v_add_f32_e32 v12, v12, v13
	v_exp_f32_e32 v12, v12
	v_cvt_i32_f32_e32 v13, v14
	v_cmp_ngt_f32_e32 vcc, s83, v10
	v_ldexp_f32 v12, v12, v13
	v_cndmask_b32_e32 v12, 0, v12, vcc
	v_cmp_nlt_f32_e32 vcc, s84, v10
	v_cndmask_b32_e32 v10, v49, v12, vcc
	v_fma_f32 v11, v10, v11, v10
	v_cmp_class_f32_e64 vcc, v10, s98
	v_cndmask_b32_e32 v10, v11, v10, vcc
	v_trunc_f32_e32 v11, v2
	v_cmp_eq_f32_e32 vcc, v11, v2
	v_mul_f32_e32 v11, 0.5, v2
	v_trunc_f32_e32 v12, v11
	v_cmp_neq_f32_e64 s[34:35], v12, v11
	s_and_b64 s[34:35], vcc, s[34:35]
	v_cndmask_b32_e64 v11, 1.0, v3, s[34:35]
	v_bfi_b32 v10, s99, v10, v11
	v_cndmask_b32_e32 v11, v46, v10, vcc
	v_cmp_eq_f32_e32 vcc, 0, v3
	v_cndmask_b32_e64 v10, v10, v11, s[36:37]
	s_or_b64 s[36:37], vcc, s[8:9]
	s_xor_b64 s[8:9], s[38:39], vcc
	v_cndmask_b32_e64 v2, v49, 0, s[8:9]
	v_cndmask_b32_e64 v11, 0, v3, s[34:35]
	v_bfi_b32 v2, s99, v2, v11
	v_cndmask_b32_e64 v2, v10, v2, s[36:37]
	v_cmp_o_f32_e32 vcc, v3, v3
	v_cndmask_b32_e32 v2, v46, v2, vcc
	v_mul_f32_e32 v0, v2, v0
	s_add_i32 s8, s49, 1
	v_cmp_eq_u32_e32 vcc, s49, v1
	v_fmac_f32_e32 v47, v61, v0
	s_or_b64 s[68:69], vcc, s[68:69]
	s_mov_b32 s49, s8
	s_andn2_b64 exec, exec, s[68:69]
	s_cbranch_execz .LBB0_270
.LBB0_244:                              ;   Parent Loop BB0_225 Depth=1
                                        ; =>  This Loop Header: Depth=2
                                        ;       Child Loop BB0_247 Depth 3
                                        ;         Child Loop BB0_249 Depth 4
                                        ;         Child Loop BB0_253 Depth 4
                                        ;         Child Loop BB0_256 Depth 4
                                        ;       Child Loop BB0_260 Depth 3
                                        ;       Child Loop BB0_265 Depth 3
                                        ;       Child Loop BB0_268 Depth 3
	v_mov_b32_e32 v61, 0
	s_and_saveexec_b64 s[70:71], s[14:15]
	s_cbranch_execz .LBB0_258
; %bb.245:                              ;   in Loop: Header=BB0_244 Depth=2
	v_mov_b32_e32 v61, 0
	s_mov_b32 s8, 0
	s_mov_b64 s[80:81], 0
	v_add_u32_e32 v10, -1, v4
	s_branch .LBB0_247
.LBB0_246:                              ;   in Loop: Header=BB0_247 Depth=3
	s_or_b64 exec, exec, s[34:35]
	v_mul_lo_u32 v3, v3, s9
	v_sub_u32_e32 v12, 0, v0
	v_cvt_f32_i32_e32 v2, v2
	s_add_i32 s9, s8, 1
	v_xor_b32_e32 v11, v0, v3
	v_max_i32_e32 v0, v0, v12
	v_sub_u32_e32 v12, 0, v3
	v_max_i32_e32 v3, v3, v12
	v_cvt_f32_u32_e32 v12, v3
	v_sub_u32_e32 v13, 0, v3
	v_cndmask_b32_e64 v2, v2, 1.0, s[18:19]
	v_ashrrev_i32_e32 v11, 31, v11
	v_rcp_iflag_f32_e32 v12, v12
	v_cmp_gt_f32_e64 s[38:39], 0, v2
	v_add_u32_e32 v10, -1, v10
	v_mul_f32_e32 v12, 0x4f7ffffe, v12
	v_cvt_u32_f32_e32 v12, v12
	v_mul_lo_u32 v13, v13, v12
	v_mul_hi_u32 v13, v12, v13
	v_add_u32_e32 v12, v12, v13
	v_mul_hi_u32 v12, v0, v12
	v_mul_lo_u32 v13, v12, v3
	v_sub_u32_e32 v0, v0, v13
	v_cmp_ge_u32_e32 vcc, v0, v3
	v_add_u32_e32 v13, 1, v12
	v_cndmask_b32_e32 v12, v12, v13, vcc
	v_sub_u32_e32 v13, v0, v3
	v_cndmask_b32_e32 v0, v0, v13, vcc
	v_cmp_ge_u32_e32 vcc, v0, v3
	v_add_u32_e32 v0, 1, v12
	v_cndmask_b32_e32 v0, v12, v0, vcc
	v_cmp_neq_f32_e32 vcc, 0, v2
	v_xor_b32_e32 v0, v0, v11
	v_cndmask_b32_e32 v3, 1.0, v38, vcc
	v_sub_u32_e32 v0, v0, v11
	v_frexp_mant_f32_e64 v11, |v3|
	v_cmp_gt_f32_e32 vcc, s96, v11
	v_cndmask_b32_e64 v12, 1.0, 2.0, vcc
	v_mul_f32_e32 v11, v11, v12
	v_add_f32_e32 v13, 1.0, v11
	v_add_f32_e32 v14, -1.0, v13
	v_add_f32_e32 v12, -1.0, v11
	v_sub_f32_e32 v11, v11, v14
	v_rcp_f32_e32 v14, v13
	v_cmp_gt_f32_e64 s[36:37], 0, v3
	v_cvt_f32_i32_e32 v0, v0
	v_mul_f32_e32 v15, v12, v14
	v_mul_f32_e32 v18, v13, v15
	v_fma_f32 v13, v15, v13, -v18
	v_fmac_f32_e32 v13, v15, v11
	v_add_f32_e32 v11, v18, v13
	v_sub_f32_e32 v19, v12, v11
	v_sub_f32_e32 v18, v11, v18
	;; [unrolled: 1-line block ×5, first 2 shown]
	v_add_f32_e32 v11, v12, v11
	v_add_f32_e32 v11, v19, v11
	v_mul_f32_e32 v12, v14, v11
	v_add_f32_e32 v11, v15, v12
	v_sub_f32_e32 v13, v11, v15
	v_sub_f32_e32 v14, v12, v13
	v_mul_f32_e32 v12, v11, v11
	v_fma_f32 v13, v11, v11, -v12
	v_add_f32_e32 v15, v14, v14
	v_fmac_f32_e32 v13, v11, v15
	v_add_f32_e32 v15, v12, v13
	v_sub_f32_e32 v12, v15, v12
	v_sub_f32_e32 v12, v13, v12
	v_mul_f32_e32 v13, v11, v15
	v_fma_f32 v19, v15, v11, -v13
	v_fmac_f32_e32 v19, v15, v14
	v_mov_b32_e32 v18, 0x3e91f4c4
	v_fmac_f32_e32 v19, v12, v11
	v_fmac_f32_e32 v18, 0x3e76c4e1, v15
	v_add_f32_e32 v9, v13, v19
	v_fma_f32 v18, v15, v18, v23
	v_sub_f32_e32 v13, v9, v13
	v_sub_f32_e32 v13, v19, v13
	v_mul_f32_e32 v19, v15, v18
	v_fma_f32 v15, v15, v18, -v19
	v_fmac_f32_e32 v15, v12, v18
	v_add_f32_e32 v12, v19, v15
	v_add_f32_e32 v18, 0x3f2aaaaa, v12
	v_sub_f32_e32 v19, v12, v19
	v_sub_f32_e32 v15, v15, v19
	v_add_f32_e32 v19, 0xbf2aaaaa, v18
	v_add_f32_e32 v15, 0x31739010, v15
	v_sub_f32_e32 v12, v12, v19
	v_add_f32_e32 v12, v15, v12
	v_add_f32_e32 v15, v18, v12
	v_sub_f32_e32 v18, v18, v15
	v_add_f32_e32 v12, v12, v18
	v_cvt_f64_f32_e64 v[18:19], |v3|
	v_mul_f32_e32 v50, v9, v15
	v_fma_f32 v52, v9, v15, -v50
	v_fmac_f32_e32 v52, v9, v12
	v_frexp_exp_i32_f64_e32 v9, v[18:19]
	v_fmac_f32_e32 v52, v13, v15
	v_ldexp_f32 v11, v11, 1
	v_subbrev_co_u32_e32 v9, vcc, 0, v9, vcc
	v_cvt_f32_i32_e32 v9, v9
	v_mul_f32_e32 v12, 0x3f317218, v9
	v_fma_f32 v13, v9, s97, -v12
	v_fmac_f32_e32 v13, 0xb102e308, v9
	v_ldexp_f32 v9, v14, 1
	v_add_f32_e32 v14, v12, v13
	v_sub_f32_e32 v12, v14, v12
	v_sub_f32_e32 v12, v13, v12
	v_add_f32_e32 v13, v50, v52
	v_sub_f32_e32 v15, v13, v50
	v_add_f32_e32 v18, v11, v13
	v_sub_f32_e32 v15, v52, v15
	v_sub_f32_e32 v11, v18, v11
	;; [unrolled: 1-line block ×3, first 2 shown]
	v_add_f32_e32 v9, v9, v15
	v_add_f32_e32 v9, v9, v11
	;; [unrolled: 1-line block ×3, first 2 shown]
	v_sub_f32_e32 v13, v11, v18
	v_sub_f32_e32 v9, v9, v13
	v_add_f32_e32 v13, v14, v11
	v_sub_f32_e32 v15, v13, v14
	v_sub_f32_e32 v18, v13, v15
	;; [unrolled: 1-line block ×4, first 2 shown]
	v_add_f32_e32 v11, v11, v14
	v_add_f32_e32 v14, v12, v9
	v_sub_f32_e32 v15, v14, v12
	v_sub_f32_e32 v18, v14, v15
	;; [unrolled: 1-line block ×4, first 2 shown]
	v_add_f32_e32 v11, v14, v11
	v_add_f32_e32 v9, v9, v12
	;; [unrolled: 1-line block ×3, first 2 shown]
	v_sub_f32_e32 v13, v12, v13
	v_sub_f32_e32 v11, v11, v13
	v_add_f32_e32 v9, v9, v11
	v_add_f32_e32 v11, v12, v9
	v_sub_f32_e32 v12, v11, v12
	v_sub_f32_e32 v9, v9, v12
	v_mul_f32_e32 v12, v2, v11
	v_fma_f32 v11, v2, v11, -v12
	v_fmac_f32_e32 v11, v2, v9
	v_add_f32_e32 v9, v12, v11
	v_cmp_class_f32_e64 vcc, v12, s98
	v_sub_f32_e32 v13, v9, v12
	v_cndmask_b32_e32 v9, v9, v12, vcc
	v_sub_f32_e32 v11, v11, v13
	v_cmp_neq_f32_e64 vcc, |v9|, s85
	v_cndmask_b32_e32 v11, 0, v11, vcc
	v_cmp_eq_f32_e32 vcc, s84, v9
	v_cndmask_b32_e32 v12, 0, v35, vcc
	v_sub_f32_e32 v9, v9, v12
	v_add_f32_e32 v11, v12, v11
	v_mul_f32_e32 v12, 0x3fb8aa3b, v9
	v_fma_f32 v13, v9, s82, -v12
	v_rndne_f32_e32 v14, v12
	v_fmac_f32_e32 v13, 0x32a5705f, v9
	v_sub_f32_e32 v12, v12, v14
	v_add_f32_e32 v12, v12, v13
	v_exp_f32_e32 v12, v12
	v_cvt_i32_f32_e32 v13, v14
	v_cmp_ngt_f32_e32 vcc, s83, v9
	v_ldexp_f32 v12, v12, v13
	v_cndmask_b32_e32 v12, 0, v12, vcc
	v_cmp_nlt_f32_e32 vcc, s84, v9
	v_cndmask_b32_e32 v9, v49, v12, vcc
	v_fma_f32 v11, v9, v11, v9
	v_cmp_class_f32_e64 vcc, v9, s98
	v_cndmask_b32_e32 v9, v11, v9, vcc
	v_trunc_f32_e32 v11, v2
	v_cmp_eq_f32_e32 vcc, v11, v2
	v_mul_f32_e32 v11, 0.5, v2
	v_trunc_f32_e32 v12, v11
	v_cmp_neq_f32_e64 s[34:35], v12, v11
	s_and_b64 s[34:35], vcc, s[34:35]
	v_cndmask_b32_e64 v11, 1.0, v3, s[34:35]
	v_bfi_b32 v9, s99, v9, v11
	v_cndmask_b32_e32 v11, v46, v9, vcc
	v_cndmask_b32_e64 v9, v9, v11, s[36:37]
	v_cmp_class_f32_e64 s[36:37], v3, s98
	v_cmp_eq_f32_e32 vcc, 0, v3
	s_or_b64 s[36:37], vcc, s[36:37]
	s_xor_b64 vcc, s[38:39], vcc
	v_cndmask_b32_e64 v2, v49, 0, vcc
	v_cndmask_b32_e64 v11, 0, v3, s[34:35]
	v_bfi_b32 v2, s99, v2, v11
	v_cndmask_b32_e64 v2, v9, v2, s[36:37]
	v_cmp_o_f32_e32 vcc, v3, v3
	v_cndmask_b32_e32 v2, v46, v2, vcc
	v_mul_f32_e32 v11, v2, v0
	v_lshl_add_u32 v0, s49, 2, v28
	v_mad_u64_u32 v[2:3], vcc, s8, 28, v[0:1]
	v_cmp_eq_u32_e32 vcc, s8, v4
	s_or_b64 s[80:81], vcc, s[80:81]
	buffer_load_dword v0, v2, s[0:3], 0 offen
	s_mov_b32 s8, s9
	s_waitcnt vmcnt(0)
	v_fmac_f32_e32 v61, v0, v11
	s_andn2_b64 exec, exec, s[80:81]
	s_cbranch_execz .LBB0_262
.LBB0_247:                              ;   Parent Loop BB0_225 Depth=1
                                        ;     Parent Loop BB0_244 Depth=2
                                        ; =>    This Loop Header: Depth=3
                                        ;         Child Loop BB0_249 Depth 4
                                        ;         Child Loop BB0_253 Depth 4
                                        ;         Child Loop BB0_256 Depth 4
	v_mov_b32_e32 v0, 1
	s_and_saveexec_b64 s[34:35], s[16:17]
	s_cbranch_execz .LBB0_251
; %bb.248:                              ;   in Loop: Header=BB0_247 Depth=3
	s_mov_b32 s9, 1
	s_mov_b64 s[36:37], 0
	s_mov_b32 s38, 1
.LBB0_249:                              ;   Parent Loop BB0_225 Depth=1
                                        ;     Parent Loop BB0_244 Depth=2
                                        ;       Parent Loop BB0_247 Depth=3
                                        ; =>      This Inner Loop Header: Depth=4
	s_add_i32 s9, s9, 1
	s_mul_i32 s38, s38, s9
	v_cmp_eq_u32_e32 vcc, s9, v4
	s_or_b64 s[36:37], vcc, s[36:37]
	v_mov_b32_e32 v0, s38
	s_andn2_b64 exec, exec, s[36:37]
	s_cbranch_execnz .LBB0_249
; %bb.250:                              ;   in Loop: Header=BB0_247 Depth=3
	s_or_b64 exec, exec, s[36:37]
.LBB0_251:                              ;   in Loop: Header=BB0_247 Depth=3
	s_or_b64 exec, exec, s[34:35]
	s_cmp_lt_u32 s8, 2
	s_mov_b32 s9, 1
	s_cbranch_scc1 .LBB0_254
; %bb.252:                              ;   in Loop: Header=BB0_247 Depth=3
	s_mov_b32 vcc_lo, 1
.LBB0_253:                              ;   Parent Loop BB0_225 Depth=1
                                        ;     Parent Loop BB0_244 Depth=2
                                        ;       Parent Loop BB0_247 Depth=3
                                        ; =>      This Inner Loop Header: Depth=4
	s_add_i32 vcc_lo, vcc_lo, 1
	s_cmp_lg_u32 s8, vcc_lo
	s_mul_i32 s9, s9, vcc_lo
	s_cbranch_scc1 .LBB0_253
.LBB0_254:                              ;   in Loop: Header=BB0_247 Depth=3
	v_subrev_u32_e32 v2, s8, v4
	v_mov_b32_e32 v3, 1
	v_cmp_lt_i32_e32 vcc, 1, v2
	s_and_saveexec_b64 s[34:35], vcc
	s_cbranch_execz .LBB0_246
; %bb.255:                              ;   in Loop: Header=BB0_247 Depth=3
	s_mov_b32 s38, 1
	s_mov_b32 s39, 0
	s_mov_b64 s[36:37], 0
.LBB0_256:                              ;   Parent Loop BB0_225 Depth=1
                                        ;     Parent Loop BB0_244 Depth=2
                                        ;       Parent Loop BB0_247 Depth=3
                                        ; =>      This Inner Loop Header: Depth=4
	s_add_i32 vcc_lo, s39, 2
	s_add_i32 s39, s39, 1
	s_mul_i32 s38, s38, vcc_lo
	v_cmp_eq_u32_e32 vcc, s39, v10
	s_or_b64 s[36:37], vcc, s[36:37]
	v_mov_b32_e32 v3, s38
	s_andn2_b64 exec, exec, s[36:37]
	s_cbranch_execnz .LBB0_256
; %bb.257:                              ;   in Loop: Header=BB0_247 Depth=3
	s_or_b64 exec, exec, s[36:37]
	s_branch .LBB0_246
.LBB0_258:                              ;   in Loop: Header=BB0_244 Depth=2
	s_or_b64 exec, exec, s[70:71]
	v_mov_b32_e32 v0, 1
	s_and_saveexec_b64 s[34:35], s[20:21]
	s_cbranch_execz .LBB0_263
.LBB0_259:                              ;   in Loop: Header=BB0_244 Depth=2
	s_mov_b32 s8, 1
	s_mov_b64 s[36:37], 0
	s_mov_b32 s9, 1
.LBB0_260:                              ;   Parent Loop BB0_225 Depth=1
                                        ;     Parent Loop BB0_244 Depth=2
                                        ; =>    This Inner Loop Header: Depth=3
	s_add_i32 s8, s8, 1
	s_mul_i32 s9, s9, s8
	v_cmp_eq_u32_e32 vcc, s8, v1
	s_or_b64 s[36:37], vcc, s[36:37]
	v_mov_b32_e32 v0, s9
	s_andn2_b64 exec, exec, s[36:37]
	s_cbranch_execnz .LBB0_260
; %bb.261:                              ;   in Loop: Header=BB0_244 Depth=2
	s_or_b64 exec, exec, s[36:37]
	s_or_b64 exec, exec, s[34:35]
	s_cmp_lt_u32 s49, 2
	s_mov_b32 s8, 1
	s_cbranch_scc1 .LBB0_266
	s_branch .LBB0_264
.LBB0_262:                              ;   in Loop: Header=BB0_244 Depth=2
	s_or_b64 exec, exec, s[80:81]
	s_or_b64 exec, exec, s[70:71]
	v_mov_b32_e32 v0, 1
	s_and_saveexec_b64 s[34:35], s[20:21]
	s_cbranch_execnz .LBB0_259
.LBB0_263:                              ;   in Loop: Header=BB0_244 Depth=2
	s_or_b64 exec, exec, s[34:35]
	s_cmp_lt_u32 s49, 2
	s_mov_b32 s8, 1
	s_cbranch_scc1 .LBB0_266
.LBB0_264:                              ;   in Loop: Header=BB0_244 Depth=2
	s_mov_b32 s9, 1
.LBB0_265:                              ;   Parent Loop BB0_225 Depth=1
                                        ;     Parent Loop BB0_244 Depth=2
                                        ; =>    This Inner Loop Header: Depth=3
	s_add_i32 s9, s9, 1
	s_cmp_lg_u32 s49, s9
	s_mul_i32 s8, s8, s9
	s_cbranch_scc1 .LBB0_265
.LBB0_266:                              ;   in Loop: Header=BB0_244 Depth=2
	v_subrev_u32_e32 v2, s49, v1
	v_mov_b32_e32 v3, 1
	v_cmp_lt_i32_e32 vcc, 1, v2
	s_and_saveexec_b64 s[34:35], vcc
	s_cbranch_execz .LBB0_243
; %bb.267:                              ;   in Loop: Header=BB0_244 Depth=2
	s_mov_b32 s9, 1
	s_mov_b32 s38, 0
	s_mov_b64 s[36:37], 0
.LBB0_268:                              ;   Parent Loop BB0_225 Depth=1
                                        ;     Parent Loop BB0_244 Depth=2
                                        ; =>    This Inner Loop Header: Depth=3
	s_add_i32 vcc_lo, s38, 2
	s_add_i32 s38, s38, 1
	s_mul_i32 s9, s9, vcc_lo
	v_cmp_eq_u32_e32 vcc, s38, v60
	s_or_b64 s[36:37], vcc, s[36:37]
	v_mov_b32_e32 v3, s9
	s_andn2_b64 exec, exec, s[36:37]
	s_cbranch_execnz .LBB0_268
; %bb.269:                              ;   in Loop: Header=BB0_244 Depth=2
	s_or_b64 exec, exec, s[36:37]
	s_branch .LBB0_243
.LBB0_270:                              ;   in Loop: Header=BB0_225 Depth=1
	s_or_b64 exec, exec, s[68:69]
.LBB0_271:                              ;   in Loop: Header=BB0_225 Depth=1
	s_or_b64 exec, exec, s[66:67]
	v_mul_f32_e32 v0, v43, v57
	v_cvt_f64_f32_e32 v[2:3], v0
	v_mul_f32_e32 v0, v31, v56
	v_cvt_f64_f32_e32 v[10:11], v0
	buffer_store_dword v25, off, s[0:3], s32 offset:128
	v_fma_f64 v[2:3], v[10:11], 2.0, v[2:3]
	v_cvt_f32_f64_e32 v2, v[2:3]
	s_and_saveexec_b64 vcc, s[24:25]
	s_cbranch_execz .LBB0_273
; %bb.272:                              ;   in Loop: Header=BB0_225 Depth=1
	v_mul_f32_e32 v0, v25, v2
	buffer_store_dword v0, off, s[0:3], s32 offset:156
.LBB0_273:                              ;   in Loop: Header=BB0_225 Depth=1
	s_or_b64 exec, exec, vcc
	v_mul_f32_e32 v0, v39, v57
	v_cvt_f64_f32_e32 v[10:11], v0
	v_mul_f32_e32 v0, v44, v56
	v_cvt_f64_f32_e32 v[14:15], v0
	v_fma_f64 v[10:11], v[14:15], 2.0, v[10:11]
	v_cvt_f32_f64_e32 v0, v[10:11]
	s_and_saveexec_b64 vcc, s[26:27]
	s_cbranch_execz .LBB0_275
; %bb.274:                              ;   in Loop: Header=BB0_225 Depth=1
	v_mul_f32_e32 v3, v25, v0
	buffer_store_dword v3, off, s[0:3], s32 offset:132
.LBB0_275:                              ;   in Loop: Header=BB0_225 Depth=1
	s_or_b64 exec, exec, vcc
	s_and_saveexec_b64 s[34:35], s[28:29]
	s_cbranch_execz .LBB0_278
; %bb.276:                              ;   in Loop: Header=BB0_225 Depth=1
	buffer_load_dword v3, off, s[0:3], s32 offset:156
	s_lshr_b32 s8, s32, 6
	s_addk_i32 s8, 0x80
	s_mov_b32 s9, 1
	s_mov_b64 s[36:37], 0
.LBB0_277:                              ;   Parent Loop BB0_225 Depth=1
                                        ; =>  This Inner Loop Header: Depth=2
	v_mov_b32_e32 v9, s8
	buffer_load_dword v10, v9, s[0:3], 0 offen
	v_cvt_f32_i32_e32 v11, s9
	s_add_i32 s9, s9, 1
	s_add_i32 s8, s8, 28
	v_cmp_eq_u32_e32 vcc, s9, v29
	v_mul_f32_e32 v11, v59, v11
	s_or_b64 s[36:37], vcc, s[36:37]
	s_waitcnt vmcnt(0)
	v_mul_f32_e32 v10, v10, v11
	v_fmac_f32_e32 v10, v3, v2
	v_mov_b32_e32 v3, v10
	buffer_store_dword v10, v9, s[0:3], 0 offen offset:56
	s_andn2_b64 exec, exec, s[36:37]
	s_cbranch_execnz .LBB0_277
.LBB0_278:                              ;   in Loop: Header=BB0_225 Depth=1
	s_or_b64 exec, exec, s[34:35]
	s_and_saveexec_b64 s[34:35], s[40:41]
	s_cbranch_execz .LBB0_281
; %bb.279:                              ;   in Loop: Header=BB0_225 Depth=1
	buffer_load_dword v2, off, s[0:3], s32 offset:132
	s_lshr_b32 s8, s32, 6
	s_addk_i32 s8, 0x80
	s_mov_b32 s9, 1
	s_mov_b64 s[36:37], 0
.LBB0_280:                              ;   Parent Loop BB0_225 Depth=1
                                        ; =>  This Inner Loop Header: Depth=2
	v_mov_b32_e32 v3, s8
	buffer_load_dword v9, v3, s[0:3], 0 offen
	v_cvt_f32_i32_e32 v10, s9
	s_add_i32 s9, s9, 1
	s_add_i32 s8, s8, 4
	v_cmp_eq_u32_e32 vcc, s9, v51
	v_mul_f32_e32 v10, v58, v10
	s_or_b64 s[36:37], vcc, s[36:37]
	s_waitcnt vmcnt(0)
	v_mul_f32_e32 v9, v9, v10
	v_fmac_f32_e32 v9, v2, v0
	v_mov_b32_e32 v2, v9
	buffer_store_dword v9, v3, s[0:3], 0 offen offset:8
	s_andn2_b64 exec, exec, s[36:37]
	s_cbranch_execnz .LBB0_280
.LBB0_281:                              ;   in Loop: Header=BB0_225 Depth=1
	s_or_b64 exec, exec, s[34:35]
	s_and_saveexec_b64 s[34:35], s[52:53]
	s_cbranch_execz .LBB0_287
; %bb.282:                              ;   in Loop: Header=BB0_225 Depth=1
	s_mov_b32 s9, 1
	s_mov_b64 s[36:37], 0
	s_mov_b32 s8, s87
	s_branch .LBB0_284
.LBB0_283:                              ;   in Loop: Header=BB0_284 Depth=2
	s_or_b64 exec, exec, s[38:39]
	s_add_i32 s38, s9, 1
	s_add_i32 s8, s8, 28
	v_cmp_eq_u32_e32 vcc, s9, v29
	s_or_b64 s[36:37], vcc, s[36:37]
	s_mov_b32 s9, s38
	s_andn2_b64 exec, exec, s[36:37]
	s_cbranch_execz .LBB0_287
.LBB0_284:                              ;   Parent Loop BB0_225 Depth=1
                                        ; =>  This Loop Header: Depth=2
                                        ;       Child Loop BB0_286 Depth 3
	s_mul_i32 vcc_lo, s9, 28
	s_lshr_b32 s38, s32, 6
	s_add_i32 vcc_lo, s38, vcc_lo
	s_addk_i32 vcc_lo, 0x80
	s_sub_i32 vcc_hi, vcc_lo, 28
	v_mov_b32_e32 v9, vcc_lo
	v_mov_b32_e32 v2, vcc_hi
	buffer_load_dword v3, v9, s[0:3], 0 offen
	buffer_load_dword v10, v2, s[0:3], 0 offen
	v_cvt_f32_u32_e32 v2, s9
	v_mul_f32_e32 v2, v56, v2
	s_waitcnt vmcnt(1)
	v_mul_f32_e32 v3, v3, v0
	s_waitcnt vmcnt(0)
	v_fmac_f32_e32 v3, v10, v2
	buffer_store_dword v3, v9, s[0:3], 0 offen offset:4
	s_and_saveexec_b64 s[38:39], s[40:41]
	s_cbranch_execz .LBB0_283
; %bb.285:                              ;   in Loop: Header=BB0_284 Depth=2
	s_mov_b32 s49, 1
	s_mov_b64 s[66:67], 0
	s_mov_b32 s68, s8
.LBB0_286:                              ;   Parent Loop BB0_225 Depth=1
                                        ;     Parent Loop BB0_284 Depth=2
                                        ; =>    This Inner Loop Header: Depth=3
	v_mov_b32_e32 v9, s68
	buffer_load_dword v10, v9, s[0:3], 0 offen offset:24
	buffer_load_dword v11, v9, s[0:3], 0 offen
	v_cvt_f32_i32_e32 v12, s49
	s_add_i32 s49, s49, 1
	s_add_i32 s68, s68, 4
	v_cmp_eq_u32_e32 vcc, s49, v51
	v_mul_f32_e32 v12, v58, v12
	s_or_b64 s[66:67], vcc, s[66:67]
	s_waitcnt vmcnt(1)
	v_mul_f32_e32 v10, v10, v12
	s_waitcnt vmcnt(0)
	v_fmac_f32_e32 v10, v2, v11
	v_fmac_f32_e32 v10, v3, v0
	v_mov_b32_e32 v3, v10
	buffer_store_dword v10, v9, s[0:3], 0 offen offset:32
	s_andn2_b64 exec, exec, s[66:67]
	s_cbranch_execnz .LBB0_286
	s_branch .LBB0_283
.LBB0_287:                              ;   in Loop: Header=BB0_225 Depth=1
	s_or_b64 exec, exec, s[34:35]
	v_mov_b32_e32 v60, 0
	s_and_saveexec_b64 s[66:67], s[42:43]
	s_cbranch_execz .LBB0_317
; %bb.288:                              ;   in Loop: Header=BB0_225 Depth=1
	v_mov_b32_e32 v60, 0
	s_mov_b32 s49, 0
	s_mov_b64 s[68:69], 0
	v_add_u32_e32 v61, -1, v7
	s_branch .LBB0_290
.LBB0_289:                              ;   in Loop: Header=BB0_290 Depth=2
	s_or_b64 exec, exec, s[34:35]
	v_mul_lo_u32 v3, v3, s8
	v_sub_u32_e32 v11, 0, v0
	v_cvt_f32_i32_e32 v2, v2
	v_add_u32_e32 v61, -1, v61
	v_xor_b32_e32 v9, v0, v3
	v_max_i32_e32 v0, v0, v11
	v_sub_u32_e32 v11, 0, v3
	v_max_i32_e32 v3, v3, v11
	v_cvt_f32_u32_e32 v11, v3
	v_sub_u32_e32 v12, 0, v3
	v_cndmask_b32_e64 v2, v2, 1.0, s[60:61]
	v_ashrrev_i32_e32 v9, 31, v9
	v_rcp_iflag_f32_e32 v11, v11
	v_cmp_gt_f32_e64 s[38:39], 0, v2
	v_mul_f32_e32 v11, 0x4f7ffffe, v11
	v_cvt_u32_f32_e32 v11, v11
	v_mul_lo_u32 v12, v12, v11
	v_mul_hi_u32 v12, v11, v12
	v_add_u32_e32 v11, v11, v12
	v_mul_hi_u32 v11, v0, v11
	v_mul_lo_u32 v12, v11, v3
	v_sub_u32_e32 v0, v0, v12
	v_cmp_ge_u32_e32 vcc, v0, v3
	v_add_u32_e32 v12, 1, v11
	v_cndmask_b32_e32 v11, v11, v12, vcc
	v_sub_u32_e32 v12, v0, v3
	v_cndmask_b32_e32 v0, v0, v12, vcc
	v_cmp_ge_u32_e32 vcc, v0, v3
	v_add_u32_e32 v0, 1, v11
	v_cndmask_b32_e32 v0, v11, v0, vcc
	v_cmp_neq_f32_e32 vcc, 0, v2
	v_xor_b32_e32 v0, v0, v9
	v_cndmask_b32_e32 v3, 1.0, v32, vcc
	v_sub_u32_e32 v0, v0, v9
	v_frexp_mant_f32_e64 v9, |v3|
	v_cmp_gt_f32_e32 vcc, s96, v9
	v_cndmask_b32_e64 v11, 1.0, 2.0, vcc
	v_mul_f32_e32 v9, v9, v11
	v_add_f32_e32 v12, 1.0, v9
	v_add_f32_e32 v13, -1.0, v12
	v_add_f32_e32 v11, -1.0, v9
	v_sub_f32_e32 v9, v9, v13
	v_rcp_f32_e32 v13, v12
	v_cmp_gt_f32_e64 s[36:37], 0, v3
	v_cmp_class_f32_e64 s[8:9], v3, s98
	v_cvt_f32_i32_e32 v0, v0
	v_mul_f32_e32 v14, v11, v13
	v_mul_f32_e32 v15, v12, v14
	v_fma_f32 v12, v14, v12, -v15
	v_fmac_f32_e32 v12, v14, v9
	v_add_f32_e32 v9, v15, v12
	v_sub_f32_e32 v18, v11, v9
	v_sub_f32_e32 v15, v9, v15
	;; [unrolled: 1-line block ×5, first 2 shown]
	v_add_f32_e32 v9, v11, v9
	v_add_f32_e32 v9, v18, v9
	v_mul_f32_e32 v9, v13, v9
	v_add_f32_e32 v11, v14, v9
	v_sub_f32_e32 v12, v11, v14
	v_sub_f32_e32 v14, v9, v12
	v_mul_f32_e32 v9, v11, v11
	v_fma_f32 v12, v11, v11, -v9
	v_add_f32_e32 v13, v14, v14
	v_fmac_f32_e32 v12, v11, v13
	v_add_f32_e32 v13, v9, v12
	v_sub_f32_e32 v9, v13, v9
	v_sub_f32_e32 v9, v12, v9
	v_mul_f32_e32 v12, v11, v13
	v_fma_f32 v18, v13, v11, -v12
	v_fmac_f32_e32 v18, v13, v14
	v_mov_b32_e32 v15, 0x3e91f4c4
	v_fmac_f32_e32 v18, v9, v11
	v_fmac_f32_e32 v15, 0x3e76c4e1, v13
	v_add_f32_e32 v19, v12, v18
	v_fma_f32 v15, v13, v15, v23
	v_sub_f32_e32 v12, v19, v12
	v_sub_f32_e32 v12, v18, v12
	v_mul_f32_e32 v18, v13, v15
	v_fma_f32 v13, v13, v15, -v18
	v_fmac_f32_e32 v13, v9, v15
	v_add_f32_e32 v9, v18, v13
	v_add_f32_e32 v15, 0x3f2aaaaa, v9
	v_sub_f32_e32 v18, v9, v18
	v_sub_f32_e32 v13, v13, v18
	v_add_f32_e32 v18, 0xbf2aaaaa, v15
	v_add_f32_e32 v13, 0x31739010, v13
	v_sub_f32_e32 v9, v9, v18
	v_add_f32_e32 v9, v13, v9
	v_add_f32_e32 v13, v15, v9
	v_sub_f32_e32 v15, v15, v13
	v_add_f32_e32 v9, v9, v15
	v_mul_f32_e32 v15, v19, v13
	v_fma_f32 v50, v19, v13, -v15
	v_fmac_f32_e32 v50, v19, v9
	v_cvt_f64_f32_e64 v[18:19], |v3|
	v_fmac_f32_e32 v50, v12, v13
	v_ldexp_f32 v11, v11, 1
	v_frexp_exp_i32_f64_e32 v9, v[18:19]
	v_subbrev_co_u32_e32 v9, vcc, 0, v9, vcc
	v_cvt_f32_i32_e32 v9, v9
	v_mul_f32_e32 v12, 0x3f317218, v9
	v_fma_f32 v13, v9, s97, -v12
	v_fmac_f32_e32 v13, 0xb102e308, v9
	v_ldexp_f32 v9, v14, 1
	v_add_f32_e32 v14, v12, v13
	v_sub_f32_e32 v12, v14, v12
	v_sub_f32_e32 v12, v13, v12
	v_add_f32_e32 v13, v15, v50
	v_sub_f32_e32 v15, v13, v15
	v_add_f32_e32 v18, v11, v13
	v_sub_f32_e32 v15, v50, v15
	v_sub_f32_e32 v11, v18, v11
	;; [unrolled: 1-line block ×3, first 2 shown]
	v_add_f32_e32 v9, v9, v15
	v_add_f32_e32 v9, v9, v11
	;; [unrolled: 1-line block ×3, first 2 shown]
	v_sub_f32_e32 v13, v11, v18
	v_sub_f32_e32 v9, v9, v13
	v_add_f32_e32 v13, v14, v11
	v_sub_f32_e32 v15, v13, v14
	v_sub_f32_e32 v18, v13, v15
	;; [unrolled: 1-line block ×4, first 2 shown]
	v_add_f32_e32 v11, v11, v14
	v_add_f32_e32 v14, v12, v9
	v_sub_f32_e32 v15, v14, v12
	v_sub_f32_e32 v18, v14, v15
	;; [unrolled: 1-line block ×4, first 2 shown]
	v_add_f32_e32 v11, v14, v11
	v_add_f32_e32 v9, v9, v12
	;; [unrolled: 1-line block ×3, first 2 shown]
	v_sub_f32_e32 v13, v12, v13
	v_sub_f32_e32 v11, v11, v13
	v_add_f32_e32 v9, v9, v11
	v_add_f32_e32 v11, v12, v9
	v_sub_f32_e32 v12, v11, v12
	v_sub_f32_e32 v9, v9, v12
	v_mul_f32_e32 v12, v2, v11
	v_fma_f32 v11, v2, v11, -v12
	v_fmac_f32_e32 v11, v2, v9
	v_add_f32_e32 v9, v12, v11
	v_cmp_class_f32_e64 vcc, v12, s98
	v_sub_f32_e32 v13, v9, v12
	v_cndmask_b32_e32 v9, v9, v12, vcc
	v_sub_f32_e32 v11, v11, v13
	v_cmp_neq_f32_e64 vcc, |v9|, s85
	v_cndmask_b32_e32 v11, 0, v11, vcc
	v_cmp_eq_f32_e32 vcc, s84, v9
	v_cndmask_b32_e32 v12, 0, v35, vcc
	v_sub_f32_e32 v9, v9, v12
	v_add_f32_e32 v11, v12, v11
	v_mul_f32_e32 v12, 0x3fb8aa3b, v9
	v_fma_f32 v13, v9, s82, -v12
	v_rndne_f32_e32 v14, v12
	v_fmac_f32_e32 v13, 0x32a5705f, v9
	v_sub_f32_e32 v12, v12, v14
	v_add_f32_e32 v12, v12, v13
	v_exp_f32_e32 v12, v12
	v_cvt_i32_f32_e32 v13, v14
	v_cmp_ngt_f32_e32 vcc, s83, v9
	v_ldexp_f32 v12, v12, v13
	v_cndmask_b32_e32 v12, 0, v12, vcc
	v_cmp_nlt_f32_e32 vcc, s84, v9
	v_cndmask_b32_e32 v9, v49, v12, vcc
	v_fma_f32 v11, v9, v11, v9
	v_cmp_class_f32_e64 vcc, v9, s98
	v_cndmask_b32_e32 v9, v11, v9, vcc
	v_trunc_f32_e32 v11, v2
	v_cmp_eq_f32_e32 vcc, v11, v2
	v_mul_f32_e32 v11, 0.5, v2
	v_trunc_f32_e32 v12, v11
	v_cmp_neq_f32_e64 s[34:35], v12, v11
	s_and_b64 s[34:35], vcc, s[34:35]
	v_cndmask_b32_e64 v11, 1.0, v3, s[34:35]
	v_bfi_b32 v9, s99, v9, v11
	v_cndmask_b32_e32 v11, v46, v9, vcc
	v_cmp_eq_f32_e32 vcc, 0, v3
	v_cndmask_b32_e64 v9, v9, v11, s[36:37]
	s_or_b64 s[36:37], vcc, s[8:9]
	s_xor_b64 s[8:9], s[38:39], vcc
	v_cndmask_b32_e64 v2, v49, 0, s[8:9]
	v_cndmask_b32_e64 v11, 0, v3, s[34:35]
	v_bfi_b32 v2, s99, v2, v11
	v_cndmask_b32_e64 v2, v9, v2, s[36:37]
	v_cmp_o_f32_e32 vcc, v3, v3
	v_cndmask_b32_e32 v2, v46, v2, vcc
	v_mul_f32_e32 v0, v2, v0
	s_add_i32 s8, s49, 1
	v_cmp_eq_u32_e32 vcc, s49, v7
	v_fmac_f32_e32 v60, v10, v0
	s_or_b64 s[68:69], vcc, s[68:69]
	s_mov_b32 s49, s8
	s_andn2_b64 exec, exec, s[68:69]
	s_cbranch_execz .LBB0_316
.LBB0_290:                              ;   Parent Loop BB0_225 Depth=1
                                        ; =>  This Loop Header: Depth=2
                                        ;       Child Loop BB0_293 Depth 3
                                        ;         Child Loop BB0_295 Depth 4
                                        ;         Child Loop BB0_299 Depth 4
	;; [unrolled: 1-line block ×3, first 2 shown]
                                        ;       Child Loop BB0_306 Depth 3
                                        ;       Child Loop BB0_311 Depth 3
	;; [unrolled: 1-line block ×3, first 2 shown]
	v_mov_b32_e32 v10, 0
	s_and_saveexec_b64 s[70:71], s[44:45]
	s_cbranch_execz .LBB0_304
; %bb.291:                              ;   in Loop: Header=BB0_290 Depth=2
	v_mov_b32_e32 v10, 0
	s_mov_b32 s8, 0
	s_mov_b64 s[80:81], 0
	v_add_u32_e32 v11, -1, v5
	s_branch .LBB0_293
.LBB0_292:                              ;   in Loop: Header=BB0_293 Depth=3
	s_or_b64 exec, exec, s[34:35]
	v_mul_lo_u32 v3, v3, s9
	v_sub_u32_e32 v12, 0, v0
	v_cvt_f32_i32_e32 v2, v2
	s_add_i32 s9, s8, 1
	v_xor_b32_e32 v9, v0, v3
	v_max_i32_e32 v0, v0, v12
	v_sub_u32_e32 v12, 0, v3
	v_max_i32_e32 v3, v3, v12
	v_cvt_f32_u32_e32 v12, v3
	v_sub_u32_e32 v13, 0, v3
	v_cndmask_b32_e64 v2, v2, 1.0, s[56:57]
	v_ashrrev_i32_e32 v9, 31, v9
	v_rcp_iflag_f32_e32 v12, v12
	v_cmp_gt_f32_e64 s[38:39], 0, v2
	v_add_u32_e32 v11, -1, v11
	v_mul_f32_e32 v12, 0x4f7ffffe, v12
	v_cvt_u32_f32_e32 v12, v12
	v_mul_lo_u32 v13, v13, v12
	v_mul_hi_u32 v13, v12, v13
	v_add_u32_e32 v12, v12, v13
	v_mul_hi_u32 v12, v0, v12
	v_mul_lo_u32 v13, v12, v3
	v_sub_u32_e32 v0, v0, v13
	v_cmp_ge_u32_e32 vcc, v0, v3
	v_add_u32_e32 v13, 1, v12
	v_cndmask_b32_e32 v12, v12, v13, vcc
	v_sub_u32_e32 v13, v0, v3
	v_cndmask_b32_e32 v0, v0, v13, vcc
	v_cmp_ge_u32_e32 vcc, v0, v3
	v_add_u32_e32 v0, 1, v12
	v_cndmask_b32_e32 v0, v12, v0, vcc
	v_cmp_neq_f32_e32 vcc, 0, v2
	v_xor_b32_e32 v0, v0, v9
	v_cndmask_b32_e32 v3, 1.0, v30, vcc
	v_sub_u32_e32 v0, v0, v9
	v_frexp_mant_f32_e64 v9, |v3|
	v_cmp_gt_f32_e32 vcc, s96, v9
	v_cndmask_b32_e64 v12, 1.0, 2.0, vcc
	v_mul_f32_e32 v9, v9, v12
	v_add_f32_e32 v13, 1.0, v9
	v_add_f32_e32 v14, -1.0, v13
	v_add_f32_e32 v12, -1.0, v9
	v_sub_f32_e32 v9, v9, v14
	v_rcp_f32_e32 v14, v13
	v_cmp_gt_f32_e64 s[36:37], 0, v3
	v_cvt_f32_i32_e32 v0, v0
	v_mul_f32_e32 v15, v12, v14
	v_mul_f32_e32 v18, v13, v15
	v_fma_f32 v13, v15, v13, -v18
	v_fmac_f32_e32 v13, v15, v9
	v_add_f32_e32 v9, v18, v13
	v_sub_f32_e32 v19, v12, v9
	v_sub_f32_e32 v18, v9, v18
	;; [unrolled: 1-line block ×5, first 2 shown]
	v_add_f32_e32 v9, v12, v9
	v_add_f32_e32 v9, v19, v9
	v_mul_f32_e32 v9, v14, v9
	v_add_f32_e32 v14, v15, v9
	v_sub_f32_e32 v12, v14, v15
	v_sub_f32_e32 v15, v9, v12
	v_mul_f32_e32 v9, v14, v14
	v_fma_f32 v12, v14, v14, -v9
	v_add_f32_e32 v13, v15, v15
	v_fmac_f32_e32 v12, v14, v13
	v_add_f32_e32 v13, v9, v12
	v_sub_f32_e32 v9, v13, v9
	v_sub_f32_e32 v9, v12, v9
	v_mul_f32_e32 v12, v14, v13
	v_fma_f32 v19, v13, v14, -v12
	v_fmac_f32_e32 v19, v13, v15
	v_mov_b32_e32 v18, 0x3e91f4c4
	v_fmac_f32_e32 v19, v9, v14
	v_fmac_f32_e32 v18, 0x3e76c4e1, v13
	v_add_f32_e32 v50, v12, v19
	v_fma_f32 v18, v13, v18, v23
	v_sub_f32_e32 v12, v50, v12
	v_sub_f32_e32 v12, v19, v12
	v_mul_f32_e32 v19, v13, v18
	v_fma_f32 v13, v13, v18, -v19
	v_fmac_f32_e32 v13, v9, v18
	v_add_f32_e32 v9, v19, v13
	v_add_f32_e32 v18, 0x3f2aaaaa, v9
	v_sub_f32_e32 v19, v9, v19
	v_sub_f32_e32 v13, v13, v19
	v_add_f32_e32 v19, 0xbf2aaaaa, v18
	v_add_f32_e32 v13, 0x31739010, v13
	v_sub_f32_e32 v9, v9, v19
	v_add_f32_e32 v9, v13, v9
	v_add_f32_e32 v13, v18, v9
	v_sub_f32_e32 v18, v18, v13
	v_add_f32_e32 v9, v9, v18
	v_cvt_f64_f32_e64 v[18:19], |v3|
	v_mul_f32_e32 v52, v50, v13
	v_fma_f32 v41, v50, v13, -v52
	v_fmac_f32_e32 v41, v50, v9
	v_frexp_exp_i32_f64_e32 v9, v[18:19]
	v_fmac_f32_e32 v41, v12, v13
	v_ldexp_f32 v14, v14, 1
	v_subbrev_co_u32_e32 v9, vcc, 0, v9, vcc
	v_cvt_f32_i32_e32 v9, v9
	v_mul_f32_e32 v12, 0x3f317218, v9
	v_fma_f32 v13, v9, s97, -v12
	v_fmac_f32_e32 v13, 0xb102e308, v9
	v_ldexp_f32 v9, v15, 1
	v_add_f32_e32 v15, v12, v13
	v_sub_f32_e32 v12, v15, v12
	v_sub_f32_e32 v12, v13, v12
	v_add_f32_e32 v13, v52, v41
	v_sub_f32_e32 v18, v13, v52
	v_add_f32_e32 v19, v14, v13
	v_sub_f32_e32 v18, v41, v18
	v_sub_f32_e32 v14, v19, v14
	;; [unrolled: 1-line block ×3, first 2 shown]
	v_add_f32_e32 v9, v9, v18
	v_add_f32_e32 v9, v9, v13
	;; [unrolled: 1-line block ×3, first 2 shown]
	v_sub_f32_e32 v14, v13, v19
	v_sub_f32_e32 v9, v9, v14
	v_add_f32_e32 v14, v15, v13
	v_sub_f32_e32 v18, v14, v15
	v_sub_f32_e32 v19, v14, v18
	;; [unrolled: 1-line block ×4, first 2 shown]
	v_add_f32_e32 v13, v13, v15
	v_add_f32_e32 v15, v12, v9
	v_sub_f32_e32 v18, v15, v12
	v_sub_f32_e32 v19, v15, v18
	;; [unrolled: 1-line block ×4, first 2 shown]
	v_add_f32_e32 v9, v9, v12
	v_add_f32_e32 v12, v15, v13
	;; [unrolled: 1-line block ×3, first 2 shown]
	v_sub_f32_e32 v14, v13, v14
	v_sub_f32_e32 v12, v12, v14
	v_add_f32_e32 v9, v9, v12
	v_add_f32_e32 v12, v13, v9
	v_sub_f32_e32 v13, v12, v13
	v_sub_f32_e32 v9, v9, v13
	v_mul_f32_e32 v13, v2, v12
	v_fma_f32 v12, v2, v12, -v13
	v_fmac_f32_e32 v12, v2, v9
	v_add_f32_e32 v9, v13, v12
	v_cmp_class_f32_e64 vcc, v13, s98
	v_sub_f32_e32 v14, v9, v13
	v_cndmask_b32_e32 v9, v9, v13, vcc
	v_sub_f32_e32 v12, v12, v14
	v_cmp_neq_f32_e64 vcc, |v9|, s85
	v_cndmask_b32_e32 v12, 0, v12, vcc
	v_cmp_eq_f32_e32 vcc, s84, v9
	v_cndmask_b32_e32 v13, 0, v35, vcc
	v_sub_f32_e32 v9, v9, v13
	v_add_f32_e32 v12, v13, v12
	v_mul_f32_e32 v13, 0x3fb8aa3b, v9
	v_fma_f32 v14, v9, s82, -v13
	v_rndne_f32_e32 v15, v13
	v_fmac_f32_e32 v14, 0x32a5705f, v9
	v_sub_f32_e32 v13, v13, v15
	v_add_f32_e32 v13, v13, v14
	v_exp_f32_e32 v13, v13
	v_cvt_i32_f32_e32 v14, v15
	v_cmp_ngt_f32_e32 vcc, s83, v9
	v_ldexp_f32 v13, v13, v14
	v_cndmask_b32_e32 v13, 0, v13, vcc
	v_cmp_nlt_f32_e32 vcc, s84, v9
	v_cndmask_b32_e32 v9, v49, v13, vcc
	v_fma_f32 v12, v9, v12, v9
	v_cmp_class_f32_e64 vcc, v9, s98
	v_cndmask_b32_e32 v9, v12, v9, vcc
	v_trunc_f32_e32 v12, v2
	v_cmp_eq_f32_e32 vcc, v12, v2
	v_mul_f32_e32 v12, 0.5, v2
	v_trunc_f32_e32 v13, v12
	v_cmp_neq_f32_e64 s[34:35], v13, v12
	s_and_b64 s[34:35], vcc, s[34:35]
	v_cndmask_b32_e64 v12, 1.0, v3, s[34:35]
	v_bfi_b32 v9, s99, v9, v12
	v_cndmask_b32_e32 v12, v46, v9, vcc
	v_cndmask_b32_e64 v9, v9, v12, s[36:37]
	v_cmp_class_f32_e64 s[36:37], v3, s98
	v_cmp_eq_f32_e32 vcc, 0, v3
	s_or_b64 s[36:37], vcc, s[36:37]
	s_xor_b64 vcc, s[38:39], vcc
	v_cndmask_b32_e64 v2, v49, 0, vcc
	v_cndmask_b32_e64 v12, 0, v3, s[34:35]
	v_bfi_b32 v2, s99, v2, v12
	v_cndmask_b32_e64 v2, v9, v2, s[36:37]
	v_cmp_o_f32_e32 vcc, v3, v3
	v_cndmask_b32_e32 v2, v46, v2, vcc
	v_mul_f32_e32 v2, v2, v0
	v_lshl_add_u32 v0, s49, 2, v22
	v_mad_u64_u32 v[14:15], vcc, s8, 28, v[0:1]
	v_cmp_eq_u32_e32 vcc, s8, v5
	s_or_b64 s[80:81], vcc, s[80:81]
	buffer_load_dword v0, v14, s[0:3], 0 offen
	s_mov_b32 s8, s9
	s_waitcnt vmcnt(0)
	v_fmac_f32_e32 v10, v0, v2
	s_andn2_b64 exec, exec, s[80:81]
	s_cbranch_execz .LBB0_308
.LBB0_293:                              ;   Parent Loop BB0_225 Depth=1
                                        ;     Parent Loop BB0_290 Depth=2
                                        ; =>    This Loop Header: Depth=3
                                        ;         Child Loop BB0_295 Depth 4
                                        ;         Child Loop BB0_299 Depth 4
	;; [unrolled: 1-line block ×3, first 2 shown]
	v_mov_b32_e32 v0, 1
	s_and_saveexec_b64 s[34:35], s[46:47]
	s_cbranch_execz .LBB0_297
; %bb.294:                              ;   in Loop: Header=BB0_293 Depth=3
	s_mov_b32 s9, 1
	s_mov_b64 s[36:37], 0
	s_mov_b32 s38, 1
.LBB0_295:                              ;   Parent Loop BB0_225 Depth=1
                                        ;     Parent Loop BB0_290 Depth=2
                                        ;       Parent Loop BB0_293 Depth=3
                                        ; =>      This Inner Loop Header: Depth=4
	s_add_i32 s9, s9, 1
	s_mul_i32 s38, s38, s9
	v_cmp_eq_u32_e32 vcc, s9, v5
	s_or_b64 s[36:37], vcc, s[36:37]
	v_mov_b32_e32 v0, s38
	s_andn2_b64 exec, exec, s[36:37]
	s_cbranch_execnz .LBB0_295
; %bb.296:                              ;   in Loop: Header=BB0_293 Depth=3
	s_or_b64 exec, exec, s[36:37]
.LBB0_297:                              ;   in Loop: Header=BB0_293 Depth=3
	s_or_b64 exec, exec, s[34:35]
	s_cmp_lt_u32 s8, 2
	s_mov_b32 s9, 1
	s_cbranch_scc1 .LBB0_300
; %bb.298:                              ;   in Loop: Header=BB0_293 Depth=3
	s_mov_b32 vcc_lo, 1
.LBB0_299:                              ;   Parent Loop BB0_225 Depth=1
                                        ;     Parent Loop BB0_290 Depth=2
                                        ;       Parent Loop BB0_293 Depth=3
                                        ; =>      This Inner Loop Header: Depth=4
	s_add_i32 vcc_lo, vcc_lo, 1
	s_cmp_lg_u32 s8, vcc_lo
	s_mul_i32 s9, s9, vcc_lo
	s_cbranch_scc1 .LBB0_299
.LBB0_300:                              ;   in Loop: Header=BB0_293 Depth=3
	v_subrev_u32_e32 v2, s8, v5
	v_mov_b32_e32 v3, 1
	v_cmp_lt_i32_e32 vcc, 1, v2
	s_and_saveexec_b64 s[34:35], vcc
	s_cbranch_execz .LBB0_292
; %bb.301:                              ;   in Loop: Header=BB0_293 Depth=3
	s_mov_b32 s38, 1
	s_mov_b32 s39, 0
	s_mov_b64 s[36:37], 0
.LBB0_302:                              ;   Parent Loop BB0_225 Depth=1
                                        ;     Parent Loop BB0_290 Depth=2
                                        ;       Parent Loop BB0_293 Depth=3
                                        ; =>      This Inner Loop Header: Depth=4
	s_add_i32 vcc_lo, s39, 2
	s_add_i32 s39, s39, 1
	s_mul_i32 s38, s38, vcc_lo
	v_cmp_eq_u32_e32 vcc, s39, v11
	s_or_b64 s[36:37], vcc, s[36:37]
	v_mov_b32_e32 v3, s38
	s_andn2_b64 exec, exec, s[36:37]
	s_cbranch_execnz .LBB0_302
; %bb.303:                              ;   in Loop: Header=BB0_293 Depth=3
	s_or_b64 exec, exec, s[36:37]
	s_branch .LBB0_292
.LBB0_304:                              ;   in Loop: Header=BB0_290 Depth=2
	s_or_b64 exec, exec, s[70:71]
	v_mov_b32_e32 v0, 1
	s_and_saveexec_b64 s[34:35], s[58:59]
	s_cbranch_execz .LBB0_309
.LBB0_305:                              ;   in Loop: Header=BB0_290 Depth=2
	s_mov_b32 s8, 1
	s_mov_b64 s[36:37], 0
	s_mov_b32 s9, 1
.LBB0_306:                              ;   Parent Loop BB0_225 Depth=1
                                        ;     Parent Loop BB0_290 Depth=2
                                        ; =>    This Inner Loop Header: Depth=3
	s_add_i32 s8, s8, 1
	s_mul_i32 s9, s9, s8
	v_cmp_eq_u32_e32 vcc, s8, v7
	s_or_b64 s[36:37], vcc, s[36:37]
	v_mov_b32_e32 v0, s9
	s_andn2_b64 exec, exec, s[36:37]
	s_cbranch_execnz .LBB0_306
; %bb.307:                              ;   in Loop: Header=BB0_290 Depth=2
	s_or_b64 exec, exec, s[36:37]
	s_or_b64 exec, exec, s[34:35]
	s_cmp_lt_u32 s49, 2
	s_mov_b32 s8, 1
	s_cbranch_scc1 .LBB0_312
	s_branch .LBB0_310
.LBB0_308:                              ;   in Loop: Header=BB0_290 Depth=2
	s_or_b64 exec, exec, s[80:81]
	s_or_b64 exec, exec, s[70:71]
	v_mov_b32_e32 v0, 1
	s_and_saveexec_b64 s[34:35], s[58:59]
	s_cbranch_execnz .LBB0_305
.LBB0_309:                              ;   in Loop: Header=BB0_290 Depth=2
	s_or_b64 exec, exec, s[34:35]
	s_cmp_lt_u32 s49, 2
	s_mov_b32 s8, 1
	s_cbranch_scc1 .LBB0_312
.LBB0_310:                              ;   in Loop: Header=BB0_290 Depth=2
	s_mov_b32 s9, 1
.LBB0_311:                              ;   Parent Loop BB0_225 Depth=1
                                        ;     Parent Loop BB0_290 Depth=2
                                        ; =>    This Inner Loop Header: Depth=3
	s_add_i32 s9, s9, 1
	s_cmp_lg_u32 s49, s9
	s_mul_i32 s8, s8, s9
	s_cbranch_scc1 .LBB0_311
.LBB0_312:                              ;   in Loop: Header=BB0_290 Depth=2
	v_subrev_u32_e32 v2, s49, v7
	v_mov_b32_e32 v3, 1
	v_cmp_lt_i32_e32 vcc, 1, v2
	s_and_saveexec_b64 s[34:35], vcc
	s_cbranch_execz .LBB0_289
; %bb.313:                              ;   in Loop: Header=BB0_290 Depth=2
	s_mov_b32 s9, 1
	s_mov_b32 s38, 0
	s_mov_b64 s[36:37], 0
.LBB0_314:                              ;   Parent Loop BB0_225 Depth=1
                                        ;     Parent Loop BB0_290 Depth=2
                                        ; =>    This Inner Loop Header: Depth=3
	s_add_i32 vcc_lo, s38, 2
	s_add_i32 s38, s38, 1
	s_mul_i32 s9, s9, vcc_lo
	v_cmp_eq_u32_e32 vcc, s38, v61
	s_or_b64 s[36:37], vcc, s[36:37]
	v_mov_b32_e32 v3, s9
	s_andn2_b64 exec, exec, s[36:37]
	s_cbranch_execnz .LBB0_314
; %bb.315:                              ;   in Loop: Header=BB0_290 Depth=2
	s_or_b64 exec, exec, s[36:37]
	s_branch .LBB0_289
.LBB0_316:                              ;   in Loop: Header=BB0_225 Depth=1
	s_or_b64 exec, exec, s[68:69]
.LBB0_317:                              ;   in Loop: Header=BB0_225 Depth=1
	s_or_b64 exec, exec, s[66:67]
	v_mul_f32_e32 v0, v45, v57
	v_cvt_f64_f32_e32 v[2:3], v0
	v_mul_f32_e32 v0, v21, v56
	v_cvt_f64_f32_e32 v[10:11], v0
	buffer_store_dword v16, off, s[0:3], s32 offset:128
	v_fma_f64 v[2:3], v[10:11], 2.0, v[2:3]
	v_cvt_f32_f64_e32 v2, v[2:3]
	s_and_saveexec_b64 vcc, s[62:63]
	s_cbranch_execz .LBB0_319
; %bb.318:                              ;   in Loop: Header=BB0_225 Depth=1
	v_mul_f32_e32 v0, v16, v2
	buffer_store_dword v0, off, s[0:3], s32 offset:156
.LBB0_319:                              ;   in Loop: Header=BB0_225 Depth=1
	s_or_b64 exec, exec, vcc
	v_mul_f32_e32 v0, v36, v57
	v_cvt_f64_f32_e32 v[10:11], v0
	v_mul_f32_e32 v0, v17, v56
	v_cvt_f64_f32_e32 v[14:15], v0
	v_fma_f64 v[10:11], v[14:15], 2.0, v[10:11]
	v_cvt_f32_f64_e32 v0, v[10:11]
	s_and_saveexec_b64 vcc, s[72:73]
	s_cbranch_execz .LBB0_321
; %bb.320:                              ;   in Loop: Header=BB0_225 Depth=1
	v_mul_f32_e32 v3, v16, v0
	buffer_store_dword v3, off, s[0:3], s32 offset:132
.LBB0_321:                              ;   in Loop: Header=BB0_225 Depth=1
	s_or_b64 exec, exec, vcc
	s_and_saveexec_b64 s[34:35], s[74:75]
	s_cbranch_execz .LBB0_324
; %bb.322:                              ;   in Loop: Header=BB0_225 Depth=1
	buffer_load_dword v3, off, s[0:3], s32 offset:156
	s_lshr_b32 s8, s32, 6
	s_addk_i32 s8, 0x80
	s_mov_b32 s9, 1
	s_mov_b64 s[36:37], 0
.LBB0_323:                              ;   Parent Loop BB0_225 Depth=1
                                        ; =>  This Inner Loop Header: Depth=2
	v_mov_b32_e32 v9, s8
	buffer_load_dword v10, v9, s[0:3], 0 offen
	v_cvt_f32_i32_e32 v11, s9
	s_add_i32 s9, s9, 1
	s_add_i32 s8, s8, 28
	v_cmp_eq_u32_e32 vcc, s9, v24
	v_mul_f32_e32 v11, v59, v11
	s_or_b64 s[36:37], vcc, s[36:37]
	s_waitcnt vmcnt(0)
	v_mul_f32_e32 v10, v10, v11
	v_fmac_f32_e32 v10, v3, v2
	v_mov_b32_e32 v3, v10
	buffer_store_dword v10, v9, s[0:3], 0 offen offset:56
	s_andn2_b64 exec, exec, s[36:37]
	s_cbranch_execnz .LBB0_323
.LBB0_324:                              ;   in Loop: Header=BB0_225 Depth=1
	s_or_b64 exec, exec, s[34:35]
	s_and_saveexec_b64 s[34:35], s[76:77]
	s_cbranch_execz .LBB0_327
; %bb.325:                              ;   in Loop: Header=BB0_225 Depth=1
	buffer_load_dword v2, off, s[0:3], s32 offset:132
	s_lshr_b32 s8, s32, 6
	s_addk_i32 s8, 0x80
	s_mov_b32 s9, 1
	s_mov_b64 s[36:37], 0
.LBB0_326:                              ;   Parent Loop BB0_225 Depth=1
                                        ; =>  This Inner Loop Header: Depth=2
	v_mov_b32_e32 v3, s8
	buffer_load_dword v9, v3, s[0:3], 0 offen
	v_cvt_f32_i32_e32 v10, s9
	s_add_i32 s9, s9, 1
	s_add_i32 s8, s8, 4
	v_cmp_eq_u32_e32 vcc, s9, v37
	v_mul_f32_e32 v10, v58, v10
	s_or_b64 s[36:37], vcc, s[36:37]
	s_waitcnt vmcnt(0)
	v_mul_f32_e32 v9, v9, v10
	v_fmac_f32_e32 v9, v2, v0
	v_mov_b32_e32 v2, v9
	buffer_store_dword v9, v3, s[0:3], 0 offen offset:8
	s_andn2_b64 exec, exec, s[36:37]
	s_cbranch_execnz .LBB0_326
.LBB0_327:                              ;   in Loop: Header=BB0_225 Depth=1
	s_or_b64 exec, exec, s[34:35]
	s_and_saveexec_b64 s[34:35], s[54:55]
	s_cbranch_execz .LBB0_333
; %bb.328:                              ;   in Loop: Header=BB0_225 Depth=1
	s_mov_b32 s9, 1
	s_mov_b64 s[36:37], 0
	s_mov_b32 s8, s87
	s_branch .LBB0_330
.LBB0_329:                              ;   in Loop: Header=BB0_330 Depth=2
	s_or_b64 exec, exec, s[38:39]
	s_add_i32 s38, s9, 1
	s_add_i32 s8, s8, 28
	v_cmp_eq_u32_e32 vcc, s9, v24
	s_or_b64 s[36:37], vcc, s[36:37]
	s_mov_b32 s9, s38
	s_andn2_b64 exec, exec, s[36:37]
	s_cbranch_execz .LBB0_333
.LBB0_330:                              ;   Parent Loop BB0_225 Depth=1
                                        ; =>  This Loop Header: Depth=2
                                        ;       Child Loop BB0_332 Depth 3
	s_mul_i32 vcc_lo, s9, 28
	s_lshr_b32 s38, s32, 6
	s_add_i32 vcc_lo, s38, vcc_lo
	s_addk_i32 vcc_lo, 0x80
	s_sub_i32 vcc_hi, vcc_lo, 28
	v_mov_b32_e32 v9, vcc_lo
	v_mov_b32_e32 v2, vcc_hi
	buffer_load_dword v3, v9, s[0:3], 0 offen
	buffer_load_dword v10, v2, s[0:3], 0 offen
	v_cvt_f32_u32_e32 v2, s9
	v_mul_f32_e32 v2, v56, v2
	s_waitcnt vmcnt(1)
	v_mul_f32_e32 v3, v3, v0
	s_waitcnt vmcnt(0)
	v_fmac_f32_e32 v3, v10, v2
	buffer_store_dword v3, v9, s[0:3], 0 offen offset:4
	s_and_saveexec_b64 s[38:39], s[76:77]
	s_cbranch_execz .LBB0_329
; %bb.331:                              ;   in Loop: Header=BB0_330 Depth=2
	s_mov_b32 s49, 1
	s_mov_b64 s[66:67], 0
	s_mov_b32 s68, s8
.LBB0_332:                              ;   Parent Loop BB0_225 Depth=1
                                        ;     Parent Loop BB0_330 Depth=2
                                        ; =>    This Inner Loop Header: Depth=3
	v_mov_b32_e32 v9, s68
	buffer_load_dword v10, v9, s[0:3], 0 offen offset:24
	buffer_load_dword v11, v9, s[0:3], 0 offen
	v_cvt_f32_i32_e32 v12, s49
	s_add_i32 s49, s49, 1
	s_add_i32 s68, s68, 4
	v_cmp_eq_u32_e32 vcc, s49, v37
	v_mul_f32_e32 v12, v58, v12
	s_or_b64 s[66:67], vcc, s[66:67]
	s_waitcnt vmcnt(1)
	v_mul_f32_e32 v10, v10, v12
	s_waitcnt vmcnt(0)
	v_fmac_f32_e32 v10, v2, v11
	v_fmac_f32_e32 v10, v3, v0
	v_mov_b32_e32 v3, v10
	buffer_store_dword v10, v9, s[0:3], 0 offen offset:32
	s_andn2_b64 exec, exec, s[66:67]
	s_cbranch_execnz .LBB0_332
	s_branch .LBB0_329
.LBB0_333:                              ;   in Loop: Header=BB0_225 Depth=1
	s_or_b64 exec, exec, s[34:35]
	v_mov_b32_e32 v56, 0
	s_and_saveexec_b64 s[66:67], s[78:79]
	s_cbranch_execz .LBB0_224
; %bb.334:                              ;   in Loop: Header=BB0_225 Depth=1
	v_mov_b32_e32 v56, 0
	s_mov_b32 s49, 0
	s_mov_b64 s[68:69], 0
	v_add_u32_e32 v57, -1, v8
	s_branch .LBB0_336
.LBB0_335:                              ;   in Loop: Header=BB0_336 Depth=2
	s_or_b64 exec, exec, s[34:35]
	v_mul_lo_u32 v3, v3, s8
	v_sub_u32_e32 v11, 0, v0
	v_cvt_f32_i32_e32 v2, v2
	v_add_u32_e32 v57, -1, v57
	v_xor_b32_e32 v9, v0, v3
	v_max_i32_e32 v0, v0, v11
	v_sub_u32_e32 v11, 0, v3
	v_max_i32_e32 v3, v3, v11
	v_cvt_f32_u32_e32 v11, v3
	v_sub_u32_e32 v12, 0, v3
	v_cndmask_b32_e64 v2, v2, 1.0, s[30:31]
	v_ashrrev_i32_e32 v9, 31, v9
	v_rcp_iflag_f32_e32 v11, v11
	v_cmp_gt_f32_e64 s[38:39], 0, v2
	v_mul_f32_e32 v11, 0x4f7ffffe, v11
	v_cvt_u32_f32_e32 v11, v11
	v_mul_lo_u32 v12, v12, v11
	v_mul_hi_u32 v12, v11, v12
	v_add_u32_e32 v11, v11, v12
	v_mul_hi_u32 v11, v0, v11
	v_mul_lo_u32 v12, v11, v3
	v_sub_u32_e32 v0, v0, v12
	v_cmp_ge_u32_e32 vcc, v0, v3
	v_add_u32_e32 v12, 1, v11
	v_cndmask_b32_e32 v11, v11, v12, vcc
	v_sub_u32_e32 v12, v0, v3
	v_cndmask_b32_e32 v0, v0, v12, vcc
	v_cmp_ge_u32_e32 vcc, v0, v3
	v_add_u32_e32 v0, 1, v11
	v_cndmask_b32_e32 v0, v11, v0, vcc
	v_cmp_neq_f32_e32 vcc, 0, v2
	v_xor_b32_e32 v0, v0, v9
	v_cndmask_b32_e32 v3, 1.0, v27, vcc
	v_sub_u32_e32 v0, v0, v9
	v_frexp_mant_f32_e64 v9, |v3|
	v_cmp_gt_f32_e32 vcc, s96, v9
	v_cndmask_b32_e64 v11, 1.0, 2.0, vcc
	v_mul_f32_e32 v9, v9, v11
	v_add_f32_e32 v12, 1.0, v9
	v_add_f32_e32 v13, -1.0, v12
	v_add_f32_e32 v11, -1.0, v9
	v_sub_f32_e32 v9, v9, v13
	v_rcp_f32_e32 v13, v12
	v_cmp_gt_f32_e64 s[36:37], 0, v3
	v_cmp_class_f32_e64 s[8:9], v3, s98
	v_cvt_f32_i32_e32 v0, v0
	v_mul_f32_e32 v14, v11, v13
	v_mul_f32_e32 v15, v12, v14
	v_fma_f32 v12, v14, v12, -v15
	v_fmac_f32_e32 v12, v14, v9
	v_add_f32_e32 v9, v15, v12
	v_sub_f32_e32 v18, v11, v9
	v_sub_f32_e32 v15, v9, v15
	;; [unrolled: 1-line block ×5, first 2 shown]
	v_add_f32_e32 v9, v11, v9
	v_add_f32_e32 v9, v18, v9
	v_mul_f32_e32 v9, v13, v9
	v_add_f32_e32 v11, v14, v9
	v_sub_f32_e32 v12, v11, v14
	v_sub_f32_e32 v14, v9, v12
	v_mul_f32_e32 v9, v11, v11
	v_fma_f32 v12, v11, v11, -v9
	v_add_f32_e32 v13, v14, v14
	v_fmac_f32_e32 v12, v11, v13
	v_add_f32_e32 v13, v9, v12
	v_sub_f32_e32 v9, v13, v9
	v_sub_f32_e32 v9, v12, v9
	v_mul_f32_e32 v12, v11, v13
	v_fma_f32 v18, v13, v11, -v12
	v_fmac_f32_e32 v18, v13, v14
	v_mov_b32_e32 v15, 0x3e91f4c4
	v_fmac_f32_e32 v18, v9, v11
	v_fmac_f32_e32 v15, 0x3e76c4e1, v13
	v_add_f32_e32 v19, v12, v18
	v_fma_f32 v15, v13, v15, v23
	v_sub_f32_e32 v12, v19, v12
	v_sub_f32_e32 v12, v18, v12
	v_mul_f32_e32 v18, v13, v15
	v_fma_f32 v13, v13, v15, -v18
	v_fmac_f32_e32 v13, v9, v15
	v_add_f32_e32 v9, v18, v13
	v_add_f32_e32 v15, 0x3f2aaaaa, v9
	v_sub_f32_e32 v18, v9, v18
	v_sub_f32_e32 v13, v13, v18
	v_add_f32_e32 v18, 0xbf2aaaaa, v15
	v_add_f32_e32 v13, 0x31739010, v13
	v_sub_f32_e32 v9, v9, v18
	v_add_f32_e32 v9, v13, v9
	v_add_f32_e32 v13, v15, v9
	v_sub_f32_e32 v15, v15, v13
	v_add_f32_e32 v9, v9, v15
	v_mul_f32_e32 v15, v19, v13
	v_fma_f32 v50, v19, v13, -v15
	v_fmac_f32_e32 v50, v19, v9
	v_cvt_f64_f32_e64 v[18:19], |v3|
	v_fmac_f32_e32 v50, v12, v13
	v_ldexp_f32 v11, v11, 1
	v_frexp_exp_i32_f64_e32 v9, v[18:19]
	v_subbrev_co_u32_e32 v9, vcc, 0, v9, vcc
	v_cvt_f32_i32_e32 v9, v9
	v_mul_f32_e32 v12, 0x3f317218, v9
	v_fma_f32 v13, v9, s97, -v12
	v_fmac_f32_e32 v13, 0xb102e308, v9
	v_ldexp_f32 v9, v14, 1
	v_add_f32_e32 v14, v12, v13
	v_sub_f32_e32 v12, v14, v12
	v_sub_f32_e32 v12, v13, v12
	v_add_f32_e32 v13, v15, v50
	v_sub_f32_e32 v15, v13, v15
	v_add_f32_e32 v18, v11, v13
	v_sub_f32_e32 v15, v50, v15
	v_sub_f32_e32 v11, v18, v11
	;; [unrolled: 1-line block ×3, first 2 shown]
	v_add_f32_e32 v9, v9, v15
	v_add_f32_e32 v9, v9, v11
	;; [unrolled: 1-line block ×3, first 2 shown]
	v_sub_f32_e32 v13, v11, v18
	v_sub_f32_e32 v9, v9, v13
	v_add_f32_e32 v13, v14, v11
	v_sub_f32_e32 v15, v13, v14
	v_sub_f32_e32 v18, v13, v15
	;; [unrolled: 1-line block ×4, first 2 shown]
	v_add_f32_e32 v11, v11, v14
	v_add_f32_e32 v14, v12, v9
	v_sub_f32_e32 v15, v14, v12
	v_sub_f32_e32 v18, v14, v15
	;; [unrolled: 1-line block ×4, first 2 shown]
	v_add_f32_e32 v11, v14, v11
	v_add_f32_e32 v9, v9, v12
	;; [unrolled: 1-line block ×3, first 2 shown]
	v_sub_f32_e32 v13, v12, v13
	v_sub_f32_e32 v11, v11, v13
	v_add_f32_e32 v9, v9, v11
	v_add_f32_e32 v11, v12, v9
	v_sub_f32_e32 v12, v11, v12
	v_sub_f32_e32 v9, v9, v12
	v_mul_f32_e32 v12, v2, v11
	v_fma_f32 v11, v2, v11, -v12
	v_fmac_f32_e32 v11, v2, v9
	v_add_f32_e32 v9, v12, v11
	v_cmp_class_f32_e64 vcc, v12, s98
	v_sub_f32_e32 v13, v9, v12
	v_cndmask_b32_e32 v9, v9, v12, vcc
	v_sub_f32_e32 v11, v11, v13
	v_cmp_neq_f32_e64 vcc, |v9|, s85
	v_cndmask_b32_e32 v11, 0, v11, vcc
	v_cmp_eq_f32_e32 vcc, s84, v9
	v_cndmask_b32_e32 v12, 0, v35, vcc
	v_sub_f32_e32 v9, v9, v12
	v_add_f32_e32 v11, v12, v11
	v_mul_f32_e32 v12, 0x3fb8aa3b, v9
	v_fma_f32 v13, v9, s82, -v12
	v_rndne_f32_e32 v14, v12
	v_fmac_f32_e32 v13, 0x32a5705f, v9
	v_sub_f32_e32 v12, v12, v14
	v_add_f32_e32 v12, v12, v13
	v_exp_f32_e32 v12, v12
	v_cvt_i32_f32_e32 v13, v14
	v_cmp_ngt_f32_e32 vcc, s83, v9
	v_ldexp_f32 v12, v12, v13
	v_cndmask_b32_e32 v12, 0, v12, vcc
	v_cmp_nlt_f32_e32 vcc, s84, v9
	v_cndmask_b32_e32 v9, v49, v12, vcc
	v_fma_f32 v11, v9, v11, v9
	v_cmp_class_f32_e64 vcc, v9, s98
	v_cndmask_b32_e32 v9, v11, v9, vcc
	v_trunc_f32_e32 v11, v2
	v_cmp_eq_f32_e32 vcc, v11, v2
	v_mul_f32_e32 v11, 0.5, v2
	v_trunc_f32_e32 v12, v11
	v_cmp_neq_f32_e64 s[34:35], v12, v11
	s_and_b64 s[34:35], vcc, s[34:35]
	v_cndmask_b32_e64 v11, 1.0, v3, s[34:35]
	v_bfi_b32 v9, s99, v9, v11
	v_cndmask_b32_e32 v11, v46, v9, vcc
	v_cmp_eq_f32_e32 vcc, 0, v3
	v_cndmask_b32_e64 v9, v9, v11, s[36:37]
	s_or_b64 s[36:37], vcc, s[8:9]
	s_xor_b64 s[8:9], s[38:39], vcc
	v_cndmask_b32_e64 v2, v49, 0, s[8:9]
	v_cndmask_b32_e64 v11, 0, v3, s[34:35]
	v_bfi_b32 v2, s99, v2, v11
	v_cndmask_b32_e64 v2, v9, v2, s[36:37]
	v_cmp_o_f32_e32 vcc, v3, v3
	v_cndmask_b32_e32 v2, v46, v2, vcc
	v_mul_f32_e32 v0, v2, v0
	s_add_i32 s8, s49, 1
	v_cmp_eq_u32_e32 vcc, s49, v8
	v_fmac_f32_e32 v56, v10, v0
	s_or_b64 s[68:69], vcc, s[68:69]
	s_mov_b32 s49, s8
	s_andn2_b64 exec, exec, s[68:69]
	s_cbranch_execz .LBB0_223
.LBB0_336:                              ;   Parent Loop BB0_225 Depth=1
                                        ; =>  This Loop Header: Depth=2
                                        ;       Child Loop BB0_339 Depth 3
                                        ;         Child Loop BB0_341 Depth 4
                                        ;         Child Loop BB0_345 Depth 4
	;; [unrolled: 1-line block ×3, first 2 shown]
                                        ;       Child Loop BB0_352 Depth 3
                                        ;       Child Loop BB0_357 Depth 3
	;; [unrolled: 1-line block ×3, first 2 shown]
	v_mov_b32_e32 v10, 0
	s_and_saveexec_b64 s[70:71], s[88:89]
	s_cbranch_execz .LBB0_350
; %bb.337:                              ;   in Loop: Header=BB0_336 Depth=2
	v_mov_b32_e32 v10, 0
	s_mov_b32 s8, 0
	s_mov_b64 s[80:81], 0
	v_add_u32_e32 v11, -1, v6
	s_branch .LBB0_339
.LBB0_338:                              ;   in Loop: Header=BB0_339 Depth=3
	s_or_b64 exec, exec, s[34:35]
	v_mul_lo_u32 v3, v3, s9
	v_sub_u32_e32 v12, 0, v0
	v_cvt_f32_i32_e32 v2, v2
	s_add_i32 s9, s8, 1
	v_xor_b32_e32 v9, v0, v3
	v_max_i32_e32 v0, v0, v12
	v_sub_u32_e32 v12, 0, v3
	v_max_i32_e32 v3, v3, v12
	v_cvt_f32_u32_e32 v12, v3
	v_sub_u32_e32 v13, 0, v3
	v_cndmask_b32_e64 v2, v2, 1.0, s[92:93]
	v_ashrrev_i32_e32 v9, 31, v9
	v_rcp_iflag_f32_e32 v12, v12
	v_cmp_gt_f32_e64 s[38:39], 0, v2
	v_add_u32_e32 v11, -1, v11
	v_mul_f32_e32 v12, 0x4f7ffffe, v12
	v_cvt_u32_f32_e32 v12, v12
	v_mul_lo_u32 v13, v13, v12
	v_mul_hi_u32 v13, v12, v13
	v_add_u32_e32 v12, v12, v13
	v_mul_hi_u32 v12, v0, v12
	v_mul_lo_u32 v13, v12, v3
	v_sub_u32_e32 v0, v0, v13
	v_cmp_ge_u32_e32 vcc, v0, v3
	v_add_u32_e32 v13, 1, v12
	v_cndmask_b32_e32 v12, v12, v13, vcc
	v_sub_u32_e32 v13, v0, v3
	v_cndmask_b32_e32 v0, v0, v13, vcc
	v_cmp_ge_u32_e32 vcc, v0, v3
	v_add_u32_e32 v0, 1, v12
	v_cndmask_b32_e32 v0, v12, v0, vcc
	v_cmp_neq_f32_e32 vcc, 0, v2
	v_xor_b32_e32 v0, v0, v9
	v_cndmask_b32_e32 v3, 1.0, v26, vcc
	v_sub_u32_e32 v0, v0, v9
	v_frexp_mant_f32_e64 v9, |v3|
	v_cmp_gt_f32_e32 vcc, s96, v9
	v_cndmask_b32_e64 v12, 1.0, 2.0, vcc
	v_mul_f32_e32 v9, v9, v12
	v_add_f32_e32 v13, 1.0, v9
	v_add_f32_e32 v14, -1.0, v13
	v_add_f32_e32 v12, -1.0, v9
	v_sub_f32_e32 v9, v9, v14
	v_rcp_f32_e32 v14, v13
	v_cmp_gt_f32_e64 s[36:37], 0, v3
	v_cvt_f32_i32_e32 v0, v0
	v_mul_f32_e32 v15, v12, v14
	v_mul_f32_e32 v18, v13, v15
	v_fma_f32 v13, v15, v13, -v18
	v_fmac_f32_e32 v13, v15, v9
	v_add_f32_e32 v9, v18, v13
	v_sub_f32_e32 v19, v12, v9
	v_sub_f32_e32 v18, v9, v18
	;; [unrolled: 1-line block ×5, first 2 shown]
	v_add_f32_e32 v9, v12, v9
	v_add_f32_e32 v9, v19, v9
	v_mul_f32_e32 v9, v14, v9
	v_add_f32_e32 v14, v15, v9
	v_sub_f32_e32 v12, v14, v15
	v_sub_f32_e32 v15, v9, v12
	v_mul_f32_e32 v9, v14, v14
	v_fma_f32 v12, v14, v14, -v9
	v_add_f32_e32 v13, v15, v15
	v_fmac_f32_e32 v12, v14, v13
	v_add_f32_e32 v13, v9, v12
	v_sub_f32_e32 v9, v13, v9
	v_sub_f32_e32 v9, v12, v9
	v_mul_f32_e32 v12, v14, v13
	v_fma_f32 v19, v13, v14, -v12
	v_fmac_f32_e32 v19, v13, v15
	v_mov_b32_e32 v18, 0x3e91f4c4
	v_fmac_f32_e32 v19, v9, v14
	v_fmac_f32_e32 v18, 0x3e76c4e1, v13
	v_add_f32_e32 v50, v12, v19
	v_fma_f32 v18, v13, v18, v23
	v_sub_f32_e32 v12, v50, v12
	v_sub_f32_e32 v12, v19, v12
	v_mul_f32_e32 v19, v13, v18
	v_fma_f32 v13, v13, v18, -v19
	v_fmac_f32_e32 v13, v9, v18
	v_add_f32_e32 v9, v19, v13
	v_add_f32_e32 v18, 0x3f2aaaaa, v9
	v_sub_f32_e32 v19, v9, v19
	v_sub_f32_e32 v13, v13, v19
	v_add_f32_e32 v19, 0xbf2aaaaa, v18
	v_add_f32_e32 v13, 0x31739010, v13
	v_sub_f32_e32 v9, v9, v19
	v_add_f32_e32 v9, v13, v9
	v_add_f32_e32 v13, v18, v9
	v_sub_f32_e32 v18, v18, v13
	v_add_f32_e32 v9, v9, v18
	v_cvt_f64_f32_e64 v[18:19], |v3|
	v_mul_f32_e32 v52, v50, v13
	v_fma_f32 v41, v50, v13, -v52
	v_fmac_f32_e32 v41, v50, v9
	v_frexp_exp_i32_f64_e32 v9, v[18:19]
	v_fmac_f32_e32 v41, v12, v13
	v_ldexp_f32 v14, v14, 1
	v_subbrev_co_u32_e32 v9, vcc, 0, v9, vcc
	v_cvt_f32_i32_e32 v9, v9
	v_mul_f32_e32 v12, 0x3f317218, v9
	v_fma_f32 v13, v9, s97, -v12
	v_fmac_f32_e32 v13, 0xb102e308, v9
	v_ldexp_f32 v9, v15, 1
	v_add_f32_e32 v15, v12, v13
	v_sub_f32_e32 v12, v15, v12
	v_sub_f32_e32 v12, v13, v12
	v_add_f32_e32 v13, v52, v41
	v_sub_f32_e32 v18, v13, v52
	v_add_f32_e32 v19, v14, v13
	v_sub_f32_e32 v18, v41, v18
	v_sub_f32_e32 v14, v19, v14
	;; [unrolled: 1-line block ×3, first 2 shown]
	v_add_f32_e32 v9, v9, v18
	v_add_f32_e32 v9, v9, v13
	;; [unrolled: 1-line block ×3, first 2 shown]
	v_sub_f32_e32 v14, v13, v19
	v_sub_f32_e32 v9, v9, v14
	v_add_f32_e32 v14, v15, v13
	v_sub_f32_e32 v18, v14, v15
	v_sub_f32_e32 v19, v14, v18
	;; [unrolled: 1-line block ×4, first 2 shown]
	v_add_f32_e32 v13, v13, v15
	v_add_f32_e32 v15, v12, v9
	v_sub_f32_e32 v18, v15, v12
	v_sub_f32_e32 v19, v15, v18
	;; [unrolled: 1-line block ×4, first 2 shown]
	v_add_f32_e32 v9, v9, v12
	v_add_f32_e32 v12, v15, v13
	;; [unrolled: 1-line block ×3, first 2 shown]
	v_sub_f32_e32 v14, v13, v14
	v_sub_f32_e32 v12, v12, v14
	v_add_f32_e32 v9, v9, v12
	v_add_f32_e32 v12, v13, v9
	v_sub_f32_e32 v13, v12, v13
	v_sub_f32_e32 v9, v9, v13
	v_mul_f32_e32 v13, v2, v12
	v_fma_f32 v12, v2, v12, -v13
	v_fmac_f32_e32 v12, v2, v9
	v_add_f32_e32 v9, v13, v12
	v_cmp_class_f32_e64 vcc, v13, s98
	v_sub_f32_e32 v14, v9, v13
	v_cndmask_b32_e32 v9, v9, v13, vcc
	v_sub_f32_e32 v12, v12, v14
	v_cmp_neq_f32_e64 vcc, |v9|, s85
	v_cndmask_b32_e32 v12, 0, v12, vcc
	v_cmp_eq_f32_e32 vcc, s84, v9
	v_cndmask_b32_e32 v13, 0, v35, vcc
	v_sub_f32_e32 v9, v9, v13
	v_add_f32_e32 v12, v13, v12
	v_mul_f32_e32 v13, 0x3fb8aa3b, v9
	v_fma_f32 v14, v9, s82, -v13
	v_rndne_f32_e32 v15, v13
	v_fmac_f32_e32 v14, 0x32a5705f, v9
	v_sub_f32_e32 v13, v13, v15
	v_add_f32_e32 v13, v13, v14
	v_exp_f32_e32 v13, v13
	v_cvt_i32_f32_e32 v14, v15
	v_cmp_ngt_f32_e32 vcc, s83, v9
	v_ldexp_f32 v13, v13, v14
	v_cndmask_b32_e32 v13, 0, v13, vcc
	v_cmp_nlt_f32_e32 vcc, s84, v9
	v_cndmask_b32_e32 v9, v49, v13, vcc
	v_fma_f32 v12, v9, v12, v9
	v_cmp_class_f32_e64 vcc, v9, s98
	v_cndmask_b32_e32 v9, v12, v9, vcc
	v_trunc_f32_e32 v12, v2
	v_cmp_eq_f32_e32 vcc, v12, v2
	v_mul_f32_e32 v12, 0.5, v2
	v_trunc_f32_e32 v13, v12
	v_cmp_neq_f32_e64 s[34:35], v13, v12
	s_and_b64 s[34:35], vcc, s[34:35]
	v_cndmask_b32_e64 v12, 1.0, v3, s[34:35]
	v_bfi_b32 v9, s99, v9, v12
	v_cndmask_b32_e32 v12, v46, v9, vcc
	v_cndmask_b32_e64 v9, v9, v12, s[36:37]
	v_cmp_class_f32_e64 s[36:37], v3, s98
	v_cmp_eq_f32_e32 vcc, 0, v3
	s_or_b64 s[36:37], vcc, s[36:37]
	s_xor_b64 vcc, s[38:39], vcc
	v_cndmask_b32_e64 v2, v49, 0, vcc
	v_cndmask_b32_e64 v12, 0, v3, s[34:35]
	v_bfi_b32 v2, s99, v2, v12
	v_cndmask_b32_e64 v2, v9, v2, s[36:37]
	v_cmp_o_f32_e32 vcc, v3, v3
	v_cndmask_b32_e32 v2, v46, v2, vcc
	v_mul_f32_e32 v2, v2, v0
	v_lshl_add_u32 v0, s49, 2, v20
	v_mad_u64_u32 v[14:15], vcc, s8, 28, v[0:1]
	v_cmp_eq_u32_e32 vcc, s8, v6
	s_or_b64 s[80:81], vcc, s[80:81]
	buffer_load_dword v0, v14, s[0:3], 0 offen
	s_mov_b32 s8, s9
	s_waitcnt vmcnt(0)
	v_fmac_f32_e32 v10, v0, v2
	s_andn2_b64 exec, exec, s[80:81]
	s_cbranch_execz .LBB0_354
.LBB0_339:                              ;   Parent Loop BB0_225 Depth=1
                                        ;     Parent Loop BB0_336 Depth=2
                                        ; =>    This Loop Header: Depth=3
                                        ;         Child Loop BB0_341 Depth 4
                                        ;         Child Loop BB0_345 Depth 4
	;; [unrolled: 1-line block ×3, first 2 shown]
	v_mov_b32_e32 v0, 1
	s_and_saveexec_b64 s[34:35], s[90:91]
	s_cbranch_execz .LBB0_343
; %bb.340:                              ;   in Loop: Header=BB0_339 Depth=3
	s_mov_b32 s9, 1
	s_mov_b64 s[36:37], 0
	s_mov_b32 s38, 1
.LBB0_341:                              ;   Parent Loop BB0_225 Depth=1
                                        ;     Parent Loop BB0_336 Depth=2
                                        ;       Parent Loop BB0_339 Depth=3
                                        ; =>      This Inner Loop Header: Depth=4
	s_add_i32 s9, s9, 1
	s_mul_i32 s38, s38, s9
	v_cmp_eq_u32_e32 vcc, s9, v6
	s_or_b64 s[36:37], vcc, s[36:37]
	v_mov_b32_e32 v0, s38
	s_andn2_b64 exec, exec, s[36:37]
	s_cbranch_execnz .LBB0_341
; %bb.342:                              ;   in Loop: Header=BB0_339 Depth=3
	s_or_b64 exec, exec, s[36:37]
.LBB0_343:                              ;   in Loop: Header=BB0_339 Depth=3
	s_or_b64 exec, exec, s[34:35]
	s_cmp_lt_u32 s8, 2
	s_mov_b32 s9, 1
	s_cbranch_scc1 .LBB0_346
; %bb.344:                              ;   in Loop: Header=BB0_339 Depth=3
	s_mov_b32 vcc_lo, 1
.LBB0_345:                              ;   Parent Loop BB0_225 Depth=1
                                        ;     Parent Loop BB0_336 Depth=2
                                        ;       Parent Loop BB0_339 Depth=3
                                        ; =>      This Inner Loop Header: Depth=4
	s_add_i32 vcc_lo, vcc_lo, 1
	s_cmp_lg_u32 s8, vcc_lo
	s_mul_i32 s9, s9, vcc_lo
	s_cbranch_scc1 .LBB0_345
.LBB0_346:                              ;   in Loop: Header=BB0_339 Depth=3
	v_subrev_u32_e32 v2, s8, v6
	v_mov_b32_e32 v3, 1
	v_cmp_lt_i32_e32 vcc, 1, v2
	s_and_saveexec_b64 s[34:35], vcc
	s_cbranch_execz .LBB0_338
; %bb.347:                              ;   in Loop: Header=BB0_339 Depth=3
	s_mov_b32 s38, 1
	s_mov_b32 s39, 0
	s_mov_b64 s[36:37], 0
.LBB0_348:                              ;   Parent Loop BB0_225 Depth=1
                                        ;     Parent Loop BB0_336 Depth=2
                                        ;       Parent Loop BB0_339 Depth=3
                                        ; =>      This Inner Loop Header: Depth=4
	s_add_i32 vcc_lo, s39, 2
	s_add_i32 s39, s39, 1
	s_mul_i32 s38, s38, vcc_lo
	v_cmp_eq_u32_e32 vcc, s39, v11
	s_or_b64 s[36:37], vcc, s[36:37]
	v_mov_b32_e32 v3, s38
	s_andn2_b64 exec, exec, s[36:37]
	s_cbranch_execnz .LBB0_348
; %bb.349:                              ;   in Loop: Header=BB0_339 Depth=3
	s_or_b64 exec, exec, s[36:37]
	s_branch .LBB0_338
.LBB0_350:                              ;   in Loop: Header=BB0_336 Depth=2
	s_or_b64 exec, exec, s[70:71]
	v_mov_b32_e32 v0, 1
	s_and_saveexec_b64 s[34:35], s[94:95]
	s_cbranch_execz .LBB0_355
.LBB0_351:                              ;   in Loop: Header=BB0_336 Depth=2
	s_mov_b32 s8, 1
	s_mov_b64 s[36:37], 0
	s_mov_b32 s9, 1
.LBB0_352:                              ;   Parent Loop BB0_225 Depth=1
                                        ;     Parent Loop BB0_336 Depth=2
                                        ; =>    This Inner Loop Header: Depth=3
	s_add_i32 s8, s8, 1
	s_mul_i32 s9, s9, s8
	v_cmp_eq_u32_e32 vcc, s8, v8
	s_or_b64 s[36:37], vcc, s[36:37]
	v_mov_b32_e32 v0, s9
	s_andn2_b64 exec, exec, s[36:37]
	s_cbranch_execnz .LBB0_352
; %bb.353:                              ;   in Loop: Header=BB0_336 Depth=2
	s_or_b64 exec, exec, s[36:37]
	s_or_b64 exec, exec, s[34:35]
	s_cmp_lt_u32 s49, 2
	s_mov_b32 s8, 1
	s_cbranch_scc1 .LBB0_358
	s_branch .LBB0_356
.LBB0_354:                              ;   in Loop: Header=BB0_336 Depth=2
	s_or_b64 exec, exec, s[80:81]
	s_or_b64 exec, exec, s[70:71]
	v_mov_b32_e32 v0, 1
	s_and_saveexec_b64 s[34:35], s[94:95]
	s_cbranch_execnz .LBB0_351
.LBB0_355:                              ;   in Loop: Header=BB0_336 Depth=2
	s_or_b64 exec, exec, s[34:35]
	s_cmp_lt_u32 s49, 2
	s_mov_b32 s8, 1
	s_cbranch_scc1 .LBB0_358
.LBB0_356:                              ;   in Loop: Header=BB0_336 Depth=2
	s_mov_b32 s9, 1
.LBB0_357:                              ;   Parent Loop BB0_225 Depth=1
                                        ;     Parent Loop BB0_336 Depth=2
                                        ; =>    This Inner Loop Header: Depth=3
	s_add_i32 s9, s9, 1
	s_cmp_lg_u32 s49, s9
	s_mul_i32 s8, s8, s9
	s_cbranch_scc1 .LBB0_357
.LBB0_358:                              ;   in Loop: Header=BB0_336 Depth=2
	v_subrev_u32_e32 v2, s49, v8
	v_mov_b32_e32 v3, 1
	v_cmp_lt_i32_e32 vcc, 1, v2
	s_and_saveexec_b64 s[34:35], vcc
	s_cbranch_execz .LBB0_335
; %bb.359:                              ;   in Loop: Header=BB0_336 Depth=2
	s_mov_b32 s9, 1
	s_mov_b32 s38, 0
	s_mov_b64 s[36:37], 0
.LBB0_360:                              ;   Parent Loop BB0_225 Depth=1
                                        ;     Parent Loop BB0_336 Depth=2
                                        ; =>    This Inner Loop Header: Depth=3
	s_add_i32 vcc_lo, s38, 2
	s_add_i32 s38, s38, 1
	s_mul_i32 s9, s9, vcc_lo
	v_cmp_eq_u32_e32 vcc, s38, v57
	s_or_b64 s[36:37], vcc, s[36:37]
	v_mov_b32_e32 v3, s9
	s_andn2_b64 exec, exec, s[36:37]
	s_cbranch_execnz .LBB0_360
; %bb.361:                              ;   in Loop: Header=BB0_336 Depth=2
	s_or_b64 exec, exec, s[36:37]
	s_branch .LBB0_335
.LBB0_362:
	s_or_b64 exec, exec, s[64:65]
	v_readlane_b32 s6, v62, 0
	v_readlane_b32 s7, v62, 1
.LBB0_363:
	s_or_b64 exec, exec, s[6:7]
	buffer_load_dword v0, off, s[0:3], s32 offset:404 ; 4-byte Folded Reload
	buffer_load_dword v1, off, s[0:3], s32 offset:408 ; 4-byte Folded Reload
	;; [unrolled: 1-line block ×4, first 2 shown]
	s_mov_b32 s4, 0xf800000
	v_readlane_b32 s30, v63, 34
	v_readlane_b32 s31, v63, 35
	v_readlane_b32 s99, v63, 33
	v_readlane_b32 s98, v63, 32
	v_readlane_b32 s97, v63, 31
	v_readlane_b32 s96, v63, 30
	v_readlane_b32 s87, v63, 29
	v_readlane_b32 s86, v63, 28
	v_readlane_b32 s85, v63, 27
	v_readlane_b32 s84, v63, 26
	v_readlane_b32 s83, v63, 25
	v_readlane_b32 s82, v63, 24
	v_readlane_b32 s81, v63, 23
	v_readlane_b32 s80, v63, 22
	v_readlane_b32 s71, v63, 21
	v_readlane_b32 s70, v63, 20
	v_readlane_b32 s69, v63, 19
	v_readlane_b32 s68, v63, 18
	v_readlane_b32 s67, v63, 17
	v_readlane_b32 s66, v63, 16
	v_readlane_b32 s65, v63, 15
	v_readlane_b32 s64, v63, 14
	v_readlane_b32 s55, v63, 13
	v_readlane_b32 s54, v63, 12
	v_readlane_b32 s53, v63, 11
	v_readlane_b32 s52, v63, 10
	v_readlane_b32 s51, v63, 9
	v_readlane_b32 s50, v63, 8
	v_readlane_b32 s49, v63, 7
	v_readlane_b32 s48, v63, 6
	v_readlane_b32 s39, v63, 5
	v_readlane_b32 s38, v63, 4
	v_readlane_b32 s37, v63, 3
	v_readlane_b32 s36, v63, 2
	v_readlane_b32 s35, v63, 1
	v_readlane_b32 s34, v63, 0
	s_waitcnt vmcnt(0)
	v_cvt_f32_f64_e32 v0, v[2:3]
	buffer_load_dword v2, off, s[0:3], s32 offset:420 ; 4-byte Folded Reload
	buffer_load_dword v3, off, s[0:3], s32 offset:388 ; 4-byte Folded Reload
	buffer_load_dword v4, off, s[0:3], s32 offset:392 ; 4-byte Folded Reload
	buffer_load_dword v5, off, s[0:3], s32 offset:396 ; 4-byte Folded Reload
	buffer_load_dword v6, off, s[0:3], s32 offset:400 ; 4-byte Folded Reload
	s_waitcnt vmcnt(4)
	v_mul_f32_e32 v1, 0x4f800000, v2
	s_waitcnt vmcnt(0)
	v_cvt_f32_f64_e32 v3, v[5:6]
	buffer_load_dword v4, off, s[0:3], s32 offset:372 ; 4-byte Folded Reload
	buffer_load_dword v5, off, s[0:3], s32 offset:376 ; 4-byte Folded Reload
	;; [unrolled: 1-line block ×4, first 2 shown]
	v_cmp_gt_f32_e32 vcc, s4, v2
	v_cndmask_b32_e32 v1, v2, v1, vcc
	v_sqrt_f32_e32 v2, v1
	s_waitcnt vmcnt(0)
	v_cvt_f32_f64_e32 v4, v[6:7]
	buffer_load_dword v5, off, s[0:3], s32 offset:356 ; 4-byte Folded Reload
	buffer_load_dword v6, off, s[0:3], s32 offset:360 ; 4-byte Folded Reload
	;; [unrolled: 1-line block ×4, first 2 shown]
	s_waitcnt vmcnt(2)
	v_add_u32_e32 v6, -1, v2
	s_waitcnt vmcnt(0)
	v_cvt_f32_f64_e32 v5, v[7:8]
	v_fma_f32 v7, -v6, v2, v1
	v_cmp_ge_f32_e64 s[4:5], 0, v7
	v_add_u32_e32 v7, 1, v2
	v_cndmask_b32_e64 v6, v2, v6, s[4:5]
	v_fma_f32 v2, -v7, v2, v1
	v_cmp_lt_f32_e64 s[4:5], 0, v2
	v_cndmask_b32_e64 v2, v6, v7, s[4:5]
	v_mul_f32_e32 v6, 0x37800000, v2
	v_cndmask_b32_e32 v2, v2, v6, vcc
	v_mov_b32_e32 v6, 0x260
	v_cmp_class_f32_e32 vcc, v1, v6
	v_cndmask_b32_e32 v1, v2, v1, vcc
	v_mul_f32_e32 v1, 0x3f906ebb, v1
	v_mul_f32_e32 v1, v1, v5
	;; [unrolled: 1-line block ×6, first 2 shown]
	buffer_load_dword v61, off, s[0:3], s32 ; 4-byte Folded Reload
	buffer_load_dword v60, off, s[0:3], s32 offset:4 ; 4-byte Folded Reload
	buffer_load_dword v59, off, s[0:3], s32 offset:8 ; 4-byte Folded Reload
	;; [unrolled: 1-line block ×13, first 2 shown]
	s_or_saveexec_b64 s[4:5], -1
	buffer_load_dword v63, off, s[0:3], s32 offset:424 ; 4-byte Folded Reload
	buffer_load_dword v62, off, s[0:3], s32 offset:428 ; 4-byte Folded Reload
	s_mov_b64 exec, s[4:5]
	s_waitcnt vmcnt(0)
	s_setpc_b64 s[30:31]
.LBB0_364:
	s_or_b64 exec, exec, s[4:5]
                                        ; implicit-def: $vgpr41
	s_andn2_saveexec_b64 s[4:5], s[14:15]
	s_cbranch_execnz .LBB0_175
.LBB0_365:
	s_or_b64 exec, exec, s[4:5]
                                        ; implicit-def: $vgpr41
	s_andn2_saveexec_b64 s[4:5], s[12:13]
	s_cbranch_execnz .LBB0_189
.LBB0_366:
	s_or_b64 exec, exec, s[4:5]
                                        ; implicit-def: $vgpr41
	s_andn2_saveexec_b64 s[6:7], s[10:11]
	s_cbranch_execnz .LBB0_203
	s_branch .LBB0_216
.Lfunc_end0:
	.size	_Z12cuda_rys_pbfPKdS0_S0_S0_, .Lfunc_end0-_Z12cuda_rys_pbfPKdS0_S0_S0_
                                        ; -- End function
	.set .L_Z12cuda_rys_pbfPKdS0_S0_S0_.num_vgpr, 64
	.set .L_Z12cuda_rys_pbfPKdS0_S0_S0_.num_agpr, 0
	.set .L_Z12cuda_rys_pbfPKdS0_S0_S0_.numbered_sgpr, 100
	.set .L_Z12cuda_rys_pbfPKdS0_S0_S0_.num_named_barrier, 0
	.set .L_Z12cuda_rys_pbfPKdS0_S0_S0_.private_seg_size, 448
	.set .L_Z12cuda_rys_pbfPKdS0_S0_S0_.uses_vcc, 1
	.set .L_Z12cuda_rys_pbfPKdS0_S0_S0_.uses_flat_scratch, 0
	.set .L_Z12cuda_rys_pbfPKdS0_S0_S0_.has_dyn_sized_stack, 0
	.set .L_Z12cuda_rys_pbfPKdS0_S0_S0_.has_recursion, 0
	.set .L_Z12cuda_rys_pbfPKdS0_S0_S0_.has_indirect_call, 0
	.section	.AMDGPU.csdata,"",@progbits
; Function info:
; codeLenInByte = 56132
; TotalNumSgprs: 104
; NumVgprs: 64
; ScratchSize: 448
; MemoryBound: 0
	.text
	.protected	_Z13cuda_mat_J_PIPKdPKiiS0_PdS0_ ; -- Begin function _Z13cuda_mat_J_PIPKdPKiiS0_PdS0_
	.globl	_Z13cuda_mat_J_PIPKdPKiiS0_PdS0_
	.p2align	8
	.type	_Z13cuda_mat_J_PIPKdPKiiS0_PdS0_,@function
_Z13cuda_mat_J_PIPKdPKiiS0_PdS0_:       ; @_Z13cuda_mat_J_PIPKdPKiiS0_PdS0_
; %bb.0:
	s_load_dword s11, s[4:5], 0x10
	s_add_u32 s0, s0, s8
	s_mov_b32 s8, s7
                                        ; implicit-def: $vgpr57 : SGPR spill to VGPR lane
	s_addc_u32 s1, s1, 0
	v_writelane_b32 v57, s8, 0
	s_waitcnt lgkmcnt(0)
	s_cmp_ge_i32 s6, s11
	v_writelane_b32 v57, s9, 1
	s_mov_b32 s8, s6
	s_cselect_b64 s[12:13], -1, 0
	v_writelane_b32 v57, s8, 2
	s_cmp_gt_i32 s7, s6
	v_writelane_b32 v57, s9, 3
	s_cselect_b64 s[8:9], -1, 0
	s_or_b64 s[6:7], s[8:9], s[12:13]
	s_and_b64 vcc, exec, s[6:7]
	s_movk_i32 s32, 0x1000
	s_cbranch_vccnz .LBB1_12
; %bb.1:
	s_load_dwordx2 s[6:7], s[4:5], 0x20
	v_mov_b32_e32 v40, v1
	v_mov_b32_e32 v41, v0
	v_lshlrev_b32_e32 v44, 3, v40
	v_mov_b32_e32 v6, 0
	s_waitcnt lgkmcnt(0)
	v_writelane_b32 v57, s6, 4
	v_writelane_b32 v57, s7, 5
	v_lshl_add_u32 v45, v41, 6, v44
	v_mov_b32_e32 v5, v6
	ds_write_b64 v45, v[5:6]
	v_writelane_b32 v57, s11, 6
	v_cmp_gt_i32_e32 vcc, s11, v41
	s_mov_b64 s[6:7], exec
	v_writelane_b32 v57, s6, 7
	v_writelane_b32 v57, s7, 8
	s_and_b64 s[6:7], s[6:7], vcc
	s_mov_b64 exec, s[6:7]
	s_cbranch_execz .LBB1_10
; %bb.2:
	s_load_dwordx4 s[12:15], s[4:5], 0x0
	s_load_dwordx2 s[16:17], s[4:5], 0x18
	v_readlane_b32 s6, v57, 2
	v_readlane_b32 s7, v57, 3
	s_mov_b32 s8, s6
	s_lshl_b32 s6, s6, 3
	s_ashr_i32 s7, s6, 31
	s_lshl_b64 s[6:7], s[6:7], 3
	s_waitcnt lgkmcnt(0)
	s_add_u32 s6, s12, s6
	v_writelane_b32 v57, s6, 9
	s_addc_u32 s6, s13, s7
	v_writelane_b32 v57, s6, 10
	v_readlane_b32 s6, v57, 0
	v_readlane_b32 s7, v57, 1
	s_mov_b32 s10, s6
	s_lshl_b32 s6, s6, 3
	s_ashr_i32 s7, s6, 31
	s_lshl_b64 s[6:7], s[6:7], 3
	s_add_u32 s6, s12, s6
	v_writelane_b32 v57, s6, 11
	s_mov_b32 s6, s8
	s_addc_u32 s33, s13, s7
	s_ashr_i32 s9, s8, 31
	v_writelane_b32 v57, s6, 2
	v_writelane_b32 v57, s7, 3
	s_lshl_b64 s[6:7], s[8:9], 2
	s_add_u32 s6, s14, s6
	s_mov_b32 s8, s10
	s_addc_u32 s7, s15, s7
	s_ashr_i32 s11, s10, 31
	v_writelane_b32 v57, s8, 0
	v_writelane_b32 v57, s9, 1
	s_lshl_b64 s[8:9], s[10:11], 2
	s_add_u32 s8, s14, s8
	s_addc_u32 s9, s15, s9
	s_load_dword s10, s[6:7], 0x0
	s_load_dword s11, s[8:9], 0x0
	s_load_dwordx2 s[18:19], s[4:5], 0x28
	v_mov_b32_e32 v1, s15
	v_lshlrev_b32_e32 v0, 2, v40
	v_mov_b32_e32 v7, 0
	s_waitcnt lgkmcnt(0)
	s_max_i32 s4, s10, s11
	s_add_i32 s5, s4, 1
	s_mul_i32 s4, s5, s4
	s_lshr_b32 s5, s4, 31
	s_add_i32 s4, s4, s5
	s_ashr_i32 s4, s4, 1
	s_min_i32 s5, s10, s11
	s_add_i32 s4, s4, s5
	s_ashr_i32 s5, s4, 31
	s_lshl_b64 s[4:5], s[4:5], 3
	s_add_u32 s4, s18, s4
	s_addc_u32 s5, s19, s5
	v_writelane_b32 v57, s4, 12
	v_writelane_b32 v57, s5, 13
	;; [unrolled: 1-line block ×7, first 2 shown]
	v_add_co_u32_e32 v0, vcc, s14, v0
	s_mov_b32 s8, 0x97d889bc
	v_writelane_b32 v57, s17, 19
	v_addc_co_u32_e32 v1, vcc, 0, v1, vcc
	v_mov_b32_e32 v8, 0
	s_mov_b64 s[6:7], 0
	s_mov_b32 s9, 0x3c9cd2b2
	v_mov_b32_e32 v46, 0x3ff00000
	v_mov_b32_e32 v9, v41
	v_writelane_b32 v57, s18, 20
	buffer_store_dword v0, off, s[0:3], 0 offset:44 ; 4-byte Folded Spill
	s_nop 0
	buffer_store_dword v1, off, s[0:3], 0 offset:48 ; 4-byte Folded Spill
	v_writelane_b32 v57, s19, 21
	s_branch .LBB1_5
.LBB1_3:                                ;   in Loop: Header=BB1_5 Depth=1
	s_or_b64 exec, exec, s[6:7]
	v_readlane_b32 s6, v57, 24
	v_readlane_b32 s7, v57, 25
.LBB1_4:                                ;   in Loop: Header=BB1_5 Depth=1
	v_readlane_b32 s4, v57, 22
	v_readlane_b32 s5, v57, 23
	s_or_b64 exec, exec, s[4:5]
	v_add_u32_e32 v9, 8, v9
	v_readlane_b32 s4, v57, 6
	v_cmp_le_i32_e32 vcc, s4, v9
	s_or_b64 s[6:7], vcc, s[6:7]
	s_andn2_b64 exec, exec, s[6:7]
	s_cbranch_execz .LBB1_10
.LBB1_5:                                ; =>This Loop Header: Depth=1
                                        ;     Child Loop BB1_8 Depth 2
	v_cmp_le_u32_e32 vcc, v40, v9
	s_mov_b64 s[4:5], exec
	v_writelane_b32 v57, s4, 22
	v_writelane_b32 v57, s5, 23
	s_and_b64 s[4:5], s[4:5], vcc
	s_mov_b64 exec, s[4:5]
	s_cbranch_execz .LBB1_4
; %bb.6:                                ;   in Loop: Header=BB1_5 Depth=1
	v_writelane_b32 v57, s6, 24
	v_writelane_b32 v57, s7, 25
	v_mov_b32_e32 v10, v6
	v_lshlrev_b64 v[0:1], 2, v[9:10]
	v_readlane_b32 s4, v57, 14
	v_readlane_b32 s6, v57, 16
	;; [unrolled: 1-line block ×3, first 2 shown]
	v_mov_b32_e32 v2, s7
	v_add_co_u32_e32 v0, vcc, s6, v0
	v_addc_co_u32_e32 v1, vcc, v2, v1, vcc
	v_lshlrev_b32_e32 v5, 3, v9
	global_load_dword v47, v[0:1], off
	v_lshlrev_b64 v[0:1], 3, v[5:6]
	v_readlane_b32 s5, v57, 15
	v_mov_b32_e32 v2, s5
	v_add_co_u32_e32 v42, vcc, s4, v0
	v_readlane_b32 s4, v57, 12
	v_readlane_b32 s5, v57, 13
	s_load_dwordx2 s[10:11], s[4:5], 0x0
	buffer_load_dword v10, off, s[0:3], 0 offset:44 ; 4-byte Folded Reload
	buffer_load_dword v11, off, s[0:3], 0 offset:48 ; 4-byte Folded Reload
	v_addc_co_u32_e32 v43, vcc, v2, v1, vcc
	s_mov_b64 s[6:7], 0
	v_mov_b32_e32 v5, v44
	v_mov_b32_e32 v56, v40
	s_waitcnt lgkmcnt(0)
	v_writelane_b32 v57, s10, 26
	v_writelane_b32 v57, s11, 27
	buffer_store_dword v9, off, s[0:3], 0 offset:36 ; 4-byte Folded Spill
	s_waitcnt vmcnt(2)
	buffer_store_dword v10, off, s[0:3], 0 offset:40 ; 4-byte Folded Spill
	s_branch .LBB1_8
.LBB1_7:                                ;   in Loop: Header=BB1_8 Depth=2
	s_or_b64 exec, exec, s[12:13]
	v_add_co_u32_e32 v10, vcc, 32, v10
	v_add_u32_e32 v56, 8, v56
	v_addc_co_u32_e32 v11, vcc, 0, v11, vcc
	v_cmp_gt_u32_e32 vcc, v56, v9
	s_or_b64 s[6:7], vcc, s[6:7]
	v_add_u32_e32 v5, 64, v5
	s_andn2_b64 exec, exec, s[6:7]
	s_cbranch_execz .LBB1_3
.LBB1_8:                                ;   Parent Loop BB1_5 Depth=1
                                        ; =>  This Inner Loop Header: Depth=2
	s_waitcnt vmcnt(2)
	global_load_dword v2, v[10:11], off
	v_mov_b32_e32 v3, s19
	v_mov_b32_e32 v4, s17
	s_waitcnt vmcnt(0)
	v_max_i32_e32 v0, v47, v2
	v_mad_u64_u32 v[0:1], s[4:5], v0, v0, v[0:1]
	v_min_i32_e32 v1, v47, v2
	v_lshrrev_b32_e32 v2, 31, v0
	v_add_u32_e32 v0, v0, v2
	v_ashrrev_i32_e32 v0, 1, v0
	v_add_u32_e32 v0, v0, v1
	v_ashrrev_i32_e32 v1, 31, v0
	v_lshlrev_b64 v[0:1], 3, v[0:1]
	v_add_co_u32_e32 v2, vcc, s18, v0
	v_addc_co_u32_e32 v3, vcc, v3, v1, vcc
	global_load_dwordx2 v[2:3], v[2:3], off
	v_add_co_u32_e32 v0, vcc, s16, v0
	v_addc_co_u32_e32 v1, vcc, v4, v1, vcc
	global_load_dwordx2 v[12:13], v[0:1], off
	s_waitcnt vmcnt(1)
	v_mul_f64 v[0:1], s[10:11], v[2:3]
	s_waitcnt vmcnt(0)
	v_mul_f64 v[0:1], v[0:1], v[12:13]
	v_cmp_nlt_f64_e64 s[4:5], |v[0:1]|, s[8:9]
	s_and_saveexec_b64 s[12:13], s[4:5]
	s_cbranch_execz .LBB1_7
; %bb.9:                                ;   in Loop: Header=BB1_8 Depth=2
	v_writelane_b32 v57, s6, 28
	v_writelane_b32 v57, s7, 29
	v_readlane_b32 s4, v57, 14
	v_lshlrev_b64 v[0:1], 3, v[5:6]
	v_readlane_b32 s6, v57, 16
	v_readlane_b32 s5, v57, 15
	buffer_store_dword v5, off, s[0:3], 0 offset:4 ; 4-byte Folded Spill
	s_nop 0
	buffer_store_dword v6, off, s[0:3], 0 offset:8 ; 4-byte Folded Spill
	v_readlane_b32 s6, v57, 9
	v_mov_b32_e32 v2, s5
	v_add_co_u32_e32 v6, vcc, s4, v0
	buffer_store_dword v7, off, s[0:3], 0 offset:12 ; 4-byte Folded Spill
	s_nop 0
	buffer_store_dword v8, off, s[0:3], 0 offset:16 ; 4-byte Folded Spill
	v_mov_b32_e32 v0, s6
	v_readlane_b32 s6, v57, 10
	v_readlane_b32 s7, v57, 17
	v_addc_co_u32_e32 v7, vcc, v2, v1, vcc
	v_mov_b32_e32 v1, s6
	v_readlane_b32 s6, v57, 11
	v_mov_b32_e32 v5, v43
	v_writelane_b32 v57, s12, 30
	s_getpc_b64 s[4:5]
	s_add_u32 s4, s4, _Z12cuda_rys_pbfPKdS0_S0_S0_@rel32@lo+4
	s_addc_u32 s5, s5, _Z12cuda_rys_pbfPKdS0_S0_S0_@rel32@hi+12
	v_mov_b32_e32 v2, s6
	v_mov_b32_e32 v3, s33
	;; [unrolled: 1-line block ×3, first 2 shown]
	v_writelane_b32 v57, s13, 31
	s_or_saveexec_b64 s[100:101], -1
	buffer_store_dword v57, off, s[0:3], 0  ; 4-byte Folded Spill
	s_mov_b64 exec, s[100:101]
	buffer_store_dword v10, off, s[0:3], 0 offset:20 ; 4-byte Folded Spill
	s_nop 0
	buffer_store_dword v11, off, s[0:3], 0 offset:24 ; 4-byte Folded Spill
	buffer_store_dword v12, off, s[0:3], 0 offset:28 ; 4-byte Folded Spill
	s_nop 0
	buffer_store_dword v13, off, s[0:3], 0 offset:32 ; 4-byte Folded Spill
	s_swappc_b64 s[30:31], s[4:5]
	buffer_load_dword v9, off, s[0:3], 0 offset:36 ; 4-byte Folded Reload
	buffer_load_dword v10, off, s[0:3], 0 offset:40 ; 4-byte Folded Reload
	;; [unrolled: 1-line block ×8, first 2 shown]
	s_or_saveexec_b64 s[100:101], -1
	buffer_load_dword v57, off, s[0:3], 0   ; 4-byte Folded Reload
	s_mov_b64 exec, s[100:101]
	buffer_load_dword v2, off, s[0:3], 0 offset:28 ; 4-byte Folded Reload
	buffer_load_dword v3, off, s[0:3], 0 offset:32 ; 4-byte Folded Reload
	v_cvt_f64_f32_e32 v[0:1], v0
	s_waitcnt vmcnt(10)
	v_cmp_eq_u32_e32 vcc, v9, v56
	s_waitcnt vmcnt(2)
	v_readlane_b32 s12, v57, 30
	v_readlane_b32 s10, v57, 26
	;; [unrolled: 1-line block ×3, first 2 shown]
	s_mov_b32 s8, 0x97d889bc
	v_readlane_b32 s18, v57, 20
	v_readlane_b32 s16, v57, 18
	;; [unrolled: 1-line block ×5, first 2 shown]
	s_mov_b32 s9, 0x3c9cd2b2
	v_readlane_b32 s19, v57, 21
	v_readlane_b32 s17, v57, 19
	s_waitcnt vmcnt(0)
	v_mul_f64 v[0:1], v[2:3], v[0:1]
	v_cndmask_b32_e32 v3, 2.0, v46, vcc
	v_mov_b32_e32 v2, v6
	v_fma_f64 v[7:8], v[2:3], v[0:1], v[7:8]
	ds_write_b64 v45, v[7:8]
	s_branch .LBB1_7
.LBB1_10:
	v_readlane_b32 s4, v57, 7
	v_readlane_b32 s5, v57, 8
	s_or_b64 exec, exec, s[4:5]
	v_or_b32_e32 v0, v41, v40
	v_cmp_eq_u32_e32 vcc, 0, v0
	s_waitcnt vmcnt(0) lgkmcnt(0)
	s_barrier
	s_and_saveexec_b64 s[4:5], vcc
	s_cbranch_execz .LBB1_12
; %bb.11:
	v_mov_b32_e32 v0, 0
	ds_read_b128 v[1:4], v0
	ds_read_b128 v[5:8], v0 offset:16
	v_readlane_b32 s4, v57, 2
	s_mov_b32 s6, s4
	s_add_i32 s4, s4, 1
	s_waitcnt lgkmcnt(1)
	v_add_f64 v[1:2], v[1:2], 0
	v_readlane_b32 s5, v57, 3
	s_mul_i32 s4, s4, s6
	s_lshr_b32 s5, s4, 31
	s_add_i32 s4, s4, s5
	s_ashr_i32 s4, s4, 1
	v_readlane_b32 s6, v57, 0
	s_add_i32 s4, s4, s6
	v_add_f64 v[1:2], v[3:4], v[1:2]
	v_readlane_b32 s7, v57, 1
	s_ashr_i32 s5, s4, 31
	s_lshl_b64 s[4:5], s[4:5], 3
	v_readlane_b32 s6, v57, 4
	v_readlane_b32 s7, v57, 5
	s_add_u32 s4, s6, s4
	s_addc_u32 s5, s7, s5
	s_waitcnt lgkmcnt(0)
	v_add_f64 v[1:2], v[5:6], v[1:2]
	v_add_f64 v[9:10], v[7:8], v[1:2]
	ds_read_b128 v[1:4], v0 offset:32
	ds_read_b128 v[5:8], v0 offset:48
	s_waitcnt lgkmcnt(1)
	v_add_f64 v[1:2], v[1:2], v[9:10]
	v_add_f64 v[1:2], v[3:4], v[1:2]
	s_waitcnt lgkmcnt(0)
	v_add_f64 v[1:2], v[5:6], v[1:2]
	v_add_f64 v[9:10], v[7:8], v[1:2]
	ds_read_b128 v[1:4], v0 offset:64
	ds_read_b128 v[5:8], v0 offset:80
	s_waitcnt lgkmcnt(1)
	v_add_f64 v[1:2], v[1:2], v[9:10]
	v_add_f64 v[1:2], v[3:4], v[1:2]
	;; [unrolled: 8-line block ×15, first 2 shown]
	s_waitcnt lgkmcnt(0)
	v_add_f64 v[1:2], v[5:6], v[1:2]
	v_add_f64 v[1:2], v[7:8], v[1:2]
	global_store_dwordx2 v0, v[1:2], s[4:5]
.LBB1_12:
	s_endpgm
	.section	.rodata,"a",@progbits
	.p2align	6, 0x0
	.amdhsa_kernel _Z13cuda_mat_J_PIPKdPKiiS0_PdS0_
		.amdhsa_group_segment_fixed_size 512
		.amdhsa_private_segment_fixed_size 512
		.amdhsa_kernarg_size 48
		.amdhsa_user_sgpr_count 6
		.amdhsa_user_sgpr_private_segment_buffer 1
		.amdhsa_user_sgpr_dispatch_ptr 0
		.amdhsa_user_sgpr_queue_ptr 0
		.amdhsa_user_sgpr_kernarg_segment_ptr 1
		.amdhsa_user_sgpr_dispatch_id 0
		.amdhsa_user_sgpr_flat_scratch_init 0
		.amdhsa_user_sgpr_private_segment_size 0
		.amdhsa_uses_dynamic_stack 0
		.amdhsa_system_sgpr_private_segment_wavefront_offset 1
		.amdhsa_system_sgpr_workgroup_id_x 1
		.amdhsa_system_sgpr_workgroup_id_y 1
		.amdhsa_system_sgpr_workgroup_id_z 0
		.amdhsa_system_sgpr_workgroup_info 0
		.amdhsa_system_vgpr_workitem_id 1
		.amdhsa_next_free_vgpr 64
		.amdhsa_next_free_sgpr 102
		.amdhsa_reserve_vcc 1
		.amdhsa_reserve_flat_scratch 0
		.amdhsa_float_round_mode_32 0
		.amdhsa_float_round_mode_16_64 0
		.amdhsa_float_denorm_mode_32 3
		.amdhsa_float_denorm_mode_16_64 3
		.amdhsa_dx10_clamp 1
		.amdhsa_ieee_mode 1
		.amdhsa_fp16_overflow 0
		.amdhsa_exception_fp_ieee_invalid_op 0
		.amdhsa_exception_fp_denorm_src 0
		.amdhsa_exception_fp_ieee_div_zero 0
		.amdhsa_exception_fp_ieee_overflow 0
		.amdhsa_exception_fp_ieee_underflow 0
		.amdhsa_exception_fp_ieee_inexact 0
		.amdhsa_exception_int_div_zero 0
	.end_amdhsa_kernel
	.text
.Lfunc_end1:
	.size	_Z13cuda_mat_J_PIPKdPKiiS0_PdS0_, .Lfunc_end1-_Z13cuda_mat_J_PIPKdPKiiS0_PdS0_
                                        ; -- End function
	.set _Z13cuda_mat_J_PIPKdPKiiS0_PdS0_.num_vgpr, max(58, .L_Z12cuda_rys_pbfPKdS0_S0_S0_.num_vgpr)
	.set _Z13cuda_mat_J_PIPKdPKiiS0_PdS0_.num_agpr, max(0, .L_Z12cuda_rys_pbfPKdS0_S0_S0_.num_agpr)
	.set _Z13cuda_mat_J_PIPKdPKiiS0_PdS0_.numbered_sgpr, max(102, .L_Z12cuda_rys_pbfPKdS0_S0_S0_.numbered_sgpr)
	.set _Z13cuda_mat_J_PIPKdPKiiS0_PdS0_.num_named_barrier, max(0, .L_Z12cuda_rys_pbfPKdS0_S0_S0_.num_named_barrier)
	.set _Z13cuda_mat_J_PIPKdPKiiS0_PdS0_.private_seg_size, 64+max(.L_Z12cuda_rys_pbfPKdS0_S0_S0_.private_seg_size)
	.set _Z13cuda_mat_J_PIPKdPKiiS0_PdS0_.uses_vcc, or(1, .L_Z12cuda_rys_pbfPKdS0_S0_S0_.uses_vcc)
	.set _Z13cuda_mat_J_PIPKdPKiiS0_PdS0_.uses_flat_scratch, or(0, .L_Z12cuda_rys_pbfPKdS0_S0_S0_.uses_flat_scratch)
	.set _Z13cuda_mat_J_PIPKdPKiiS0_PdS0_.has_dyn_sized_stack, or(0, .L_Z12cuda_rys_pbfPKdS0_S0_S0_.has_dyn_sized_stack)
	.set _Z13cuda_mat_J_PIPKdPKiiS0_PdS0_.has_recursion, or(0, .L_Z12cuda_rys_pbfPKdS0_S0_S0_.has_recursion)
	.set _Z13cuda_mat_J_PIPKdPKiiS0_PdS0_.has_indirect_call, or(0, .L_Z12cuda_rys_pbfPKdS0_S0_S0_.has_indirect_call)
	.section	.AMDGPU.csdata,"",@progbits
; Kernel info:
; codeLenInByte = 2660
; TotalNumSgprs: 106
; NumVgprs: 64
; ScratchSize: 512
; MemoryBound: 0
; FloatMode: 240
; IeeeMode: 1
; LDSByteSize: 512 bytes/workgroup (compile time only)
; SGPRBlocks: 13
; VGPRBlocks: 15
; NumSGPRsForWavesPerEU: 106
; NumVGPRsForWavesPerEU: 64
; Occupancy: 4
; WaveLimiterHint : 0
; COMPUTE_PGM_RSRC2:SCRATCH_EN: 1
; COMPUTE_PGM_RSRC2:USER_SGPR: 6
; COMPUTE_PGM_RSRC2:TRAP_HANDLER: 0
; COMPUTE_PGM_RSRC2:TGID_X_EN: 1
; COMPUTE_PGM_RSRC2:TGID_Y_EN: 1
; COMPUTE_PGM_RSRC2:TGID_Z_EN: 0
; COMPUTE_PGM_RSRC2:TIDIG_COMP_CNT: 1
	.text
	.protected	_Z13cuda_mat_K_PIPKdPKiiS0_PdS0_ ; -- Begin function _Z13cuda_mat_K_PIPKdPKiiS0_PdS0_
	.globl	_Z13cuda_mat_K_PIPKdPKiiS0_PdS0_
	.p2align	8
	.type	_Z13cuda_mat_K_PIPKdPKiiS0_PdS0_,@function
_Z13cuda_mat_K_PIPKdPKiiS0_PdS0_:       ; @_Z13cuda_mat_K_PIPKdPKiiS0_PdS0_
; %bb.0:
	s_load_dword s11, s[4:5], 0x10
	s_add_u32 s0, s0, s8
	s_mov_b32 s8, s7
                                        ; implicit-def: $vgpr56 : SGPR spill to VGPR lane
	s_addc_u32 s1, s1, 0
	v_writelane_b32 v56, s8, 0
	s_waitcnt lgkmcnt(0)
	s_cmp_ge_i32 s6, s11
	v_writelane_b32 v56, s9, 1
	s_mov_b32 s8, s6
	s_cselect_b64 s[12:13], -1, 0
	v_writelane_b32 v56, s8, 2
	s_cmp_gt_i32 s7, s6
	v_writelane_b32 v56, s9, 3
	s_cselect_b64 s[8:9], -1, 0
	s_or_b64 s[6:7], s[8:9], s[12:13]
	s_and_b64 vcc, exec, s[6:7]
	s_movk_i32 s32, 0x1000
	s_cbranch_vccnz .LBB2_12
; %bb.1:
	s_load_dwordx2 s[6:7], s[4:5], 0x20
	v_mov_b32_e32 v40, v1
	v_mov_b32_e32 v41, v0
	v_lshlrev_b32_e32 v44, 3, v40
	v_mov_b32_e32 v8, 0
	s_waitcnt lgkmcnt(0)
	v_writelane_b32 v56, s6, 4
	v_lshl_add_u32 v45, v41, 6, v44
	v_mov_b32_e32 v7, v8
	v_writelane_b32 v56, s7, 5
	ds_write_b64 v45, v[7:8]
	v_cmp_gt_i32_e32 vcc, s11, v41
	s_mov_b64 s[6:7], exec
	v_writelane_b32 v56, s6, 6
	v_writelane_b32 v56, s7, 7
	s_and_b64 s[6:7], s[6:7], vcc
	s_mov_b64 exec, s[6:7]
	s_cbranch_execz .LBB2_10
; %bb.2:
	s_load_dwordx4 s[12:15], s[4:5], 0x0
	s_load_dwordx2 s[16:17], s[4:5], 0x18
	s_load_dwordx2 s[18:19], s[4:5], 0x28
	v_readlane_b32 s4, v56, 2
	v_readlane_b32 s5, v56, 3
	s_mov_b32 s6, s4
	s_lshl_b32 s4, s4, 3
	s_ashr_i32 s5, s4, 31
	s_lshl_b64 s[4:5], s[4:5], 3
	s_waitcnt lgkmcnt(0)
	s_add_u32 s4, s12, s4
	v_writelane_b32 v56, s4, 8
	s_addc_u32 s4, s13, s5
	v_writelane_b32 v56, s4, 9
	v_readlane_b32 s4, v56, 0
	v_readlane_b32 s5, v56, 1
	s_mov_b32 s8, s4
	s_lshl_b32 s4, s4, 3
	s_ashr_i32 s5, s4, 31
	s_lshl_b64 s[4:5], s[4:5], 3
	s_add_u32 s4, s12, s4
	v_writelane_b32 v56, s4, 10
	s_addc_u32 s4, s13, s5
	v_writelane_b32 v56, s4, 11
	s_mov_b32 s4, s6
	s_ashr_i32 s7, s6, 31
	v_writelane_b32 v56, s4, 2
	v_writelane_b32 v56, s5, 3
	s_lshl_b64 s[4:5], s[6:7], 2
	s_add_u32 s4, s14, s4
	s_mov_b32 s6, s8
	s_addc_u32 s5, s15, s5
	s_ashr_i32 s9, s8, 31
	v_writelane_b32 v56, s6, 0
	v_writelane_b32 v56, s7, 1
	s_lshl_b64 s[6:7], s[8:9], 2
	s_load_dword s8, s[4:5], 0x0
	s_add_u32 s6, s14, s6
	s_addc_u32 s7, s15, s7
	s_load_dword s33, s[6:7], 0x0
	v_mov_b32_e32 v1, s15
	s_waitcnt lgkmcnt(0)
	v_writelane_b32 v56, s8, 12
	v_writelane_b32 v56, s12, 13
	;; [unrolled: 1-line block ×8, first 2 shown]
	v_lshlrev_b32_e32 v0, 2, v40
	v_writelane_b32 v56, s19, 20
                                        ; kill: killed $sgpr6 killed $sgpr7
	v_cmp_gt_u32_e64 s[6:7], s11, v40
	v_add_co_u32_e32 v0, vcc, s14, v0
	v_mov_b32_e32 v9, 0
	s_mov_b32 s20, 0x97d889bc
	v_writelane_b32 v56, s11, 21
                                        ; kill: killed $sgpr4 killed $sgpr5
	v_addc_co_u32_e32 v1, vcc, 0, v1, vcc
	v_mov_b32_e32 v10, 0
	s_mov_b64 s[4:5], 0
	s_mov_b32 s21, 0x3c9cd2b2
	v_mov_b32_e32 v4, v41
	v_writelane_b32 v56, s6, 22
	buffer_store_dword v0, off, s[0:3], 0 offset:52 ; 4-byte Folded Spill
	s_nop 0
	buffer_store_dword v1, off, s[0:3], 0 offset:56 ; 4-byte Folded Spill
	v_writelane_b32 v56, s7, 23
	s_branch .LBB2_5
.LBB2_3:                                ;   in Loop: Header=BB2_5 Depth=1
	s_or_b64 exec, exec, s[6:7]
	buffer_load_dword v4, off, s[0:3], 0 offset:44 ; 4-byte Folded Reload
	buffer_load_dword v5, off, s[0:3], 0 offset:48 ; 4-byte Folded Reload
	v_readlane_b32 s6, v56, 22
	v_readlane_b32 s7, v56, 23
.LBB2_4:                                ;   in Loop: Header=BB2_5 Depth=1
	v_readlane_b32 s4, v56, 26
	v_readlane_b32 s5, v56, 27
	s_or_b64 exec, exec, s[4:5]
	v_readlane_b32 s4, v56, 24
	s_waitcnt vmcnt(1)
	v_add_u32_e32 v4, 8, v4
	v_readlane_b32 s5, v56, 25
	v_cmp_le_i32_e32 vcc, s11, v4
	s_or_b64 s[4:5], vcc, s[4:5]
	s_andn2_b64 exec, exec, s[4:5]
	s_cbranch_execz .LBB2_10
.LBB2_5:                                ; =>This Loop Header: Depth=1
                                        ;     Child Loop BB2_8 Depth 2
	v_writelane_b32 v56, s4, 24
	v_writelane_b32 v56, s5, 25
	s_mov_b64 s[4:5], exec
	v_writelane_b32 v56, s4, 26
	v_writelane_b32 v56, s5, 27
	s_and_b64 s[4:5], s[4:5], s[6:7]
	s_mov_b64 exec, s[4:5]
	s_cbranch_execz .LBB2_4
; %bb.6:                                ;   in Loop: Header=BB2_5 Depth=1
	s_waitcnt vmcnt(0)
	v_mov_b32_e32 v5, v8
	v_lshlrev_b64 v[0:1], 2, v[4:5]
	v_readlane_b32 s12, v56, 13
	v_readlane_b32 s14, v56, 15
	;; [unrolled: 1-line block ×3, first 2 shown]
	v_mov_b32_e32 v2, s15
	v_add_co_u32_e32 v0, vcc, s14, v0
	v_addc_co_u32_e32 v1, vcc, v2, v1, vcc
	global_load_dword v46, v[0:1], off
	v_readlane_b32 s6, v56, 12
	v_mov_b32_e32 v2, s19
	v_lshlrev_b32_e32 v7, 3, v4
	v_readlane_b32 s13, v56, 14
	v_mov_b32_e32 v47, v40
	s_waitcnt vmcnt(0)
	v_max_i32_e32 v0, s6, v46
	v_mad_u64_u32 v[0:1], s[4:5], v0, v0, v[0:1]
	v_min_i32_e32 v1, s6, v46
	s_mov_b64 s[6:7], 0
	v_lshrrev_b32_e32 v3, 31, v0
	v_add_u32_e32 v0, v0, v3
	v_ashrrev_i32_e32 v0, 1, v0
	v_add_u32_e32 v0, v0, v1
	v_ashrrev_i32_e32 v1, 31, v0
	v_lshlrev_b64 v[0:1], 3, v[0:1]
	v_add_co_u32_e32 v0, vcc, s18, v0
	v_addc_co_u32_e32 v1, vcc, v2, v1, vcc
	global_load_dwordx2 v[11:12], v[0:1], off
	v_mov_b32_e32 v0, v4
	buffer_store_dword v0, off, s[0:3], 0 offset:44 ; 4-byte Folded Spill
	s_nop 0
	buffer_store_dword v1, off, s[0:3], 0 offset:48 ; 4-byte Folded Spill
	buffer_load_dword v13, off, s[0:3], 0 offset:52 ; 4-byte Folded Reload
	buffer_load_dword v14, off, s[0:3], 0 offset:56 ; 4-byte Folded Reload
	v_lshlrev_b64 v[0:1], 3, v[7:8]
	v_mov_b32_e32 v2, s13
	v_add_co_u32_e32 v42, vcc, s12, v0
	v_addc_co_u32_e32 v43, vcc, v2, v1, vcc
	v_mov_b32_e32 v7, v44
	s_waitcnt vmcnt(4)
	buffer_store_dword v11, off, s[0:3], 0 offset:36 ; 4-byte Folded Spill
	s_nop 0
	buffer_store_dword v12, off, s[0:3], 0 offset:40 ; 4-byte Folded Spill
	s_branch .LBB2_8
.LBB2_7:                                ;   in Loop: Header=BB2_8 Depth=2
	s_or_b64 exec, exec, s[12:13]
	v_add_co_u32_e32 v13, vcc, 32, v13
	v_add_u32_e32 v47, 8, v47
	v_addc_co_u32_e32 v14, vcc, 0, v14, vcc
	v_cmp_le_i32_e32 vcc, s11, v47
	s_or_b64 s[6:7], vcc, s[6:7]
	v_add_u32_e32 v7, 64, v7
	s_andn2_b64 exec, exec, s[6:7]
	s_cbranch_execz .LBB2_3
.LBB2_8:                                ;   Parent Loop BB2_5 Depth=1
                                        ; =>  This Inner Loop Header: Depth=2
	s_waitcnt vmcnt(2)
	global_load_dword v4, v[13:14], off
	v_mov_b32_e32 v5, s19
	s_waitcnt vmcnt(0)
	v_max_i32_e32 v0, s33, v4
	v_max_i32_e32 v1, v46, v4
	v_mad_u64_u32 v[2:3], s[4:5], v0, v0, v[0:1]
	v_min_i32_e32 v3, v46, v4
	v_mad_u64_u32 v[0:1], s[4:5], v1, v1, v[1:2]
	v_min_i32_e32 v1, s33, v4
	v_lshrrev_b32_e32 v4, 31, v2
	v_lshrrev_b32_e32 v6, 31, v0
	v_add_u32_e32 v2, v2, v4
	v_add_u32_e32 v0, v0, v6
	v_ashrrev_i32_e32 v2, 1, v2
	v_ashrrev_i32_e32 v4, 1, v0
	v_add_u32_e32 v0, v2, v1
	v_ashrrev_i32_e32 v1, 31, v0
	v_lshlrev_b64 v[0:1], 3, v[0:1]
	v_add_u32_e32 v2, v4, v3
	v_add_co_u32_e32 v0, vcc, s18, v0
	v_addc_co_u32_e32 v1, vcc, v5, v1, vcc
	global_load_dwordx2 v[0:1], v[0:1], off
	v_ashrrev_i32_e32 v3, 31, v2
	v_lshlrev_b64 v[2:3], 3, v[2:3]
	v_mov_b32_e32 v4, s17
	v_add_co_u32_e32 v2, vcc, s16, v2
	v_addc_co_u32_e32 v3, vcc, v4, v3, vcc
	global_load_dwordx2 v[2:3], v[2:3], off
	s_waitcnt vmcnt(1)
	v_mul_f64 v[0:1], v[11:12], v[0:1]
	s_waitcnt vmcnt(0)
	v_mul_f64 v[0:1], v[0:1], v[2:3]
	v_cmp_nlt_f64_e64 s[4:5], |v[0:1]|, s[20:21]
	s_and_saveexec_b64 s[12:13], s[4:5]
	s_cbranch_execz .LBB2_7
; %bb.9:                                ;   in Loop: Header=BB2_8 Depth=2
	v_writelane_b32 v56, s6, 28
	v_writelane_b32 v56, s7, 29
	v_readlane_b32 s4, v56, 13
	v_lshlrev_b64 v[0:1], 3, v[7:8]
	v_readlane_b32 s6, v56, 15
	v_readlane_b32 s5, v56, 14
	buffer_store_dword v2, off, s[0:3], 0 offset:28 ; 4-byte Folded Spill
	s_nop 0
	buffer_store_dword v3, off, s[0:3], 0 offset:32 ; 4-byte Folded Spill
	v_readlane_b32 s6, v56, 8
	v_mov_b32_e32 v2, s5
	v_add_co_u32_e32 v6, vcc, s4, v0
	buffer_store_dword v7, off, s[0:3], 0 offset:4 ; 4-byte Folded Spill
	s_nop 0
	buffer_store_dword v8, off, s[0:3], 0 offset:8 ; 4-byte Folded Spill
	v_mov_b32_e32 v0, s6
	v_readlane_b32 s6, v56, 9
	v_addc_co_u32_e32 v7, vcc, v2, v1, vcc
	v_mov_b32_e32 v1, s6
	v_readlane_b32 s6, v56, 10
	v_readlane_b32 s7, v56, 16
	v_mov_b32_e32 v4, s6
	v_readlane_b32 s6, v56, 11
	v_writelane_b32 v56, s12, 30
	s_getpc_b64 s[4:5]
	s_add_u32 s4, s4, _Z12cuda_rys_pbfPKdS0_S0_S0_@rel32@lo+4
	s_addc_u32 s5, s5, _Z12cuda_rys_pbfPKdS0_S0_S0_@rel32@hi+12
	v_mov_b32_e32 v2, v42
	v_mov_b32_e32 v3, v43
	;; [unrolled: 1-line block ×3, first 2 shown]
	v_writelane_b32 v56, s13, 31
	s_or_saveexec_b64 s[100:101], -1
	buffer_store_dword v56, off, s[0:3], 0  ; 4-byte Folded Spill
	s_mov_b64 exec, s[100:101]
	buffer_store_dword v9, off, s[0:3], 0 offset:12 ; 4-byte Folded Spill
	s_nop 0
	buffer_store_dword v10, off, s[0:3], 0 offset:16 ; 4-byte Folded Spill
	buffer_store_dword v13, off, s[0:3], 0 offset:20 ; 4-byte Folded Spill
	s_nop 0
	buffer_store_dword v14, off, s[0:3], 0 offset:24 ; 4-byte Folded Spill
	s_swappc_b64 s[30:31], s[4:5]
	buffer_load_dword v13, off, s[0:3], 0 offset:20 ; 4-byte Folded Reload
	buffer_load_dword v14, off, s[0:3], 0 offset:24 ; 4-byte Folded Reload
	;; [unrolled: 1-line block ×8, first 2 shown]
	s_or_saveexec_b64 s[100:101], -1
	buffer_load_dword v56, off, s[0:3], 0   ; 4-byte Folded Reload
	s_mov_b64 exec, s[100:101]
	buffer_load_dword v2, off, s[0:3], 0 offset:28 ; 4-byte Folded Reload
	buffer_load_dword v3, off, s[0:3], 0 offset:32 ; 4-byte Folded Reload
	v_cvt_f64_f32_e32 v[0:1], v0
	s_waitcnt vmcnt(2)
	v_readlane_b32 s12, v56, 30
	v_readlane_b32 s6, v56, 28
	s_mov_b32 s20, 0x97d889bc
	v_readlane_b32 s18, v56, 19
	v_readlane_b32 s16, v56, 17
	;; [unrolled: 1-line block ×4, first 2 shown]
	s_mov_b32 s21, 0x3c9cd2b2
	v_readlane_b32 s19, v56, 20
	v_readlane_b32 s17, v56, 18
	;; [unrolled: 1-line block ×3, first 2 shown]
	s_waitcnt vmcnt(0)
	v_fma_f64 v[9:10], v[2:3], v[0:1], v[9:10]
	ds_write_b64 v45, v[9:10]
	s_branch .LBB2_7
.LBB2_10:
	v_readlane_b32 s4, v56, 6
	v_readlane_b32 s5, v56, 7
	s_or_b64 exec, exec, s[4:5]
	v_or_b32_e32 v0, v41, v40
	v_cmp_eq_u32_e32 vcc, 0, v0
	s_waitcnt vmcnt(0) lgkmcnt(0)
	s_barrier
	s_and_saveexec_b64 s[4:5], vcc
	s_cbranch_execz .LBB2_12
; %bb.11:
	v_mov_b32_e32 v0, 0
	ds_read_b128 v[1:4], v0
	ds_read_b128 v[5:8], v0 offset:16
	v_readlane_b32 s4, v56, 2
	s_mov_b32 s6, s4
	s_add_i32 s4, s4, 1
	s_waitcnt lgkmcnt(1)
	v_add_f64 v[1:2], v[1:2], 0
	v_readlane_b32 s5, v56, 3
	s_mul_i32 s4, s4, s6
	s_lshr_b32 s5, s4, 31
	s_add_i32 s4, s4, s5
	s_ashr_i32 s4, s4, 1
	v_readlane_b32 s6, v56, 0
	s_add_i32 s4, s4, s6
	v_add_f64 v[1:2], v[3:4], v[1:2]
	v_readlane_b32 s7, v56, 1
	s_ashr_i32 s5, s4, 31
	s_lshl_b64 s[4:5], s[4:5], 3
	v_readlane_b32 s6, v56, 4
	v_readlane_b32 s7, v56, 5
	s_add_u32 s4, s6, s4
	s_addc_u32 s5, s7, s5
	s_waitcnt lgkmcnt(0)
	v_add_f64 v[1:2], v[5:6], v[1:2]
	v_add_f64 v[9:10], v[7:8], v[1:2]
	ds_read_b128 v[1:4], v0 offset:32
	ds_read_b128 v[5:8], v0 offset:48
	s_waitcnt lgkmcnt(1)
	v_add_f64 v[1:2], v[1:2], v[9:10]
	v_add_f64 v[1:2], v[3:4], v[1:2]
	s_waitcnt lgkmcnt(0)
	v_add_f64 v[1:2], v[5:6], v[1:2]
	v_add_f64 v[9:10], v[7:8], v[1:2]
	ds_read_b128 v[1:4], v0 offset:64
	ds_read_b128 v[5:8], v0 offset:80
	s_waitcnt lgkmcnt(1)
	v_add_f64 v[1:2], v[1:2], v[9:10]
	v_add_f64 v[1:2], v[3:4], v[1:2]
	;; [unrolled: 8-line block ×15, first 2 shown]
	s_waitcnt lgkmcnt(0)
	v_add_f64 v[1:2], v[5:6], v[1:2]
	v_add_f64 v[1:2], v[7:8], v[1:2]
	global_store_dwordx2 v0, v[1:2], s[4:5]
.LBB2_12:
	s_endpgm
	.section	.rodata,"a",@progbits
	.p2align	6, 0x0
	.amdhsa_kernel _Z13cuda_mat_K_PIPKdPKiiS0_PdS0_
		.amdhsa_group_segment_fixed_size 512
		.amdhsa_private_segment_fixed_size 512
		.amdhsa_kernarg_size 48
		.amdhsa_user_sgpr_count 6
		.amdhsa_user_sgpr_private_segment_buffer 1
		.amdhsa_user_sgpr_dispatch_ptr 0
		.amdhsa_user_sgpr_queue_ptr 0
		.amdhsa_user_sgpr_kernarg_segment_ptr 1
		.amdhsa_user_sgpr_dispatch_id 0
		.amdhsa_user_sgpr_flat_scratch_init 0
		.amdhsa_user_sgpr_private_segment_size 0
		.amdhsa_uses_dynamic_stack 0
		.amdhsa_system_sgpr_private_segment_wavefront_offset 1
		.amdhsa_system_sgpr_workgroup_id_x 1
		.amdhsa_system_sgpr_workgroup_id_y 1
		.amdhsa_system_sgpr_workgroup_id_z 0
		.amdhsa_system_sgpr_workgroup_info 0
		.amdhsa_system_vgpr_workitem_id 1
		.amdhsa_next_free_vgpr 64
		.amdhsa_next_free_sgpr 102
		.amdhsa_reserve_vcc 1
		.amdhsa_reserve_flat_scratch 0
		.amdhsa_float_round_mode_32 0
		.amdhsa_float_round_mode_16_64 0
		.amdhsa_float_denorm_mode_32 3
		.amdhsa_float_denorm_mode_16_64 3
		.amdhsa_dx10_clamp 1
		.amdhsa_ieee_mode 1
		.amdhsa_fp16_overflow 0
		.amdhsa_exception_fp_ieee_invalid_op 0
		.amdhsa_exception_fp_denorm_src 0
		.amdhsa_exception_fp_ieee_div_zero 0
		.amdhsa_exception_fp_ieee_overflow 0
		.amdhsa_exception_fp_ieee_underflow 0
		.amdhsa_exception_fp_ieee_inexact 0
		.amdhsa_exception_int_div_zero 0
	.end_amdhsa_kernel
	.text
.Lfunc_end2:
	.size	_Z13cuda_mat_K_PIPKdPKiiS0_PdS0_, .Lfunc_end2-_Z13cuda_mat_K_PIPKdPKiiS0_PdS0_
                                        ; -- End function
	.set _Z13cuda_mat_K_PIPKdPKiiS0_PdS0_.num_vgpr, max(57, .L_Z12cuda_rys_pbfPKdS0_S0_S0_.num_vgpr)
	.set _Z13cuda_mat_K_PIPKdPKiiS0_PdS0_.num_agpr, max(0, .L_Z12cuda_rys_pbfPKdS0_S0_S0_.num_agpr)
	.set _Z13cuda_mat_K_PIPKdPKiiS0_PdS0_.numbered_sgpr, max(102, .L_Z12cuda_rys_pbfPKdS0_S0_S0_.numbered_sgpr)
	.set _Z13cuda_mat_K_PIPKdPKiiS0_PdS0_.num_named_barrier, max(0, .L_Z12cuda_rys_pbfPKdS0_S0_S0_.num_named_barrier)
	.set _Z13cuda_mat_K_PIPKdPKiiS0_PdS0_.private_seg_size, 64+max(.L_Z12cuda_rys_pbfPKdS0_S0_S0_.private_seg_size)
	.set _Z13cuda_mat_K_PIPKdPKiiS0_PdS0_.uses_vcc, or(1, .L_Z12cuda_rys_pbfPKdS0_S0_S0_.uses_vcc)
	.set _Z13cuda_mat_K_PIPKdPKiiS0_PdS0_.uses_flat_scratch, or(0, .L_Z12cuda_rys_pbfPKdS0_S0_S0_.uses_flat_scratch)
	.set _Z13cuda_mat_K_PIPKdPKiiS0_PdS0_.has_dyn_sized_stack, or(0, .L_Z12cuda_rys_pbfPKdS0_S0_S0_.has_dyn_sized_stack)
	.set _Z13cuda_mat_K_PIPKdPKiiS0_PdS0_.has_recursion, or(0, .L_Z12cuda_rys_pbfPKdS0_S0_S0_.has_recursion)
	.set _Z13cuda_mat_K_PIPKdPKiiS0_PdS0_.has_indirect_call, or(0, .L_Z12cuda_rys_pbfPKdS0_S0_S0_.has_indirect_call)
	.section	.AMDGPU.csdata,"",@progbits
; Kernel info:
; codeLenInByte = 2736
; TotalNumSgprs: 106
; NumVgprs: 64
; ScratchSize: 512
; MemoryBound: 0
; FloatMode: 240
; IeeeMode: 1
; LDSByteSize: 512 bytes/workgroup (compile time only)
; SGPRBlocks: 13
; VGPRBlocks: 15
; NumSGPRsForWavesPerEU: 106
; NumVGPRsForWavesPerEU: 64
; Occupancy: 4
; WaveLimiterHint : 0
; COMPUTE_PGM_RSRC2:SCRATCH_EN: 1
; COMPUTE_PGM_RSRC2:USER_SGPR: 6
; COMPUTE_PGM_RSRC2:TRAP_HANDLER: 0
; COMPUTE_PGM_RSRC2:TGID_X_EN: 1
; COMPUTE_PGM_RSRC2:TGID_Y_EN: 1
; COMPUTE_PGM_RSRC2:TGID_Z_EN: 0
; COMPUTE_PGM_RSRC2:TIDIG_COMP_CNT: 1
	.section	.AMDGPU.gpr_maximums,"",@progbits
	.set amdgpu.max_num_vgpr, 64
	.set amdgpu.max_num_agpr, 0
	.set amdgpu.max_num_sgpr, 100
	.section	.AMDGPU.csdata,"",@progbits
	.type	__hip_cuid_1ffcafc994fe502e,@object ; @__hip_cuid_1ffcafc994fe502e
	.section	.bss,"aw",@nobits
	.globl	__hip_cuid_1ffcafc994fe502e
__hip_cuid_1ffcafc994fe502e:
	.byte	0                               ; 0x0
	.size	__hip_cuid_1ffcafc994fe502e, 1

	.ident	"AMD clang version 22.0.0git (https://github.com/RadeonOpenCompute/llvm-project roc-7.2.4 26084 f58b06dce1f9c15707c5f808fd002e18c2accf7e)"
	.section	".note.GNU-stack","",@progbits
	.addrsig
	.addrsig_sym __hip_cuid_1ffcafc994fe502e
	.amdgpu_metadata
---
amdhsa.kernels:
  - .args:
      - .actual_access:  read_only
        .address_space:  global
        .offset:         0
        .size:           8
        .value_kind:     global_buffer
      - .actual_access:  read_only
        .address_space:  global
        .offset:         8
        .size:           8
        .value_kind:     global_buffer
      - .offset:         16
        .size:           4
        .value_kind:     by_value
      - .actual_access:  read_only
        .address_space:  global
        .offset:         24
        .size:           8
        .value_kind:     global_buffer
      - .actual_access:  write_only
        .address_space:  global
        .offset:         32
        .size:           8
        .value_kind:     global_buffer
      - .actual_access:  read_only
        .address_space:  global
        .offset:         40
        .size:           8
        .value_kind:     global_buffer
    .group_segment_fixed_size: 512
    .kernarg_segment_align: 8
    .kernarg_segment_size: 48
    .language:       OpenCL C
    .language_version:
      - 2
      - 0
    .max_flat_workgroup_size: 1024
    .name:           _Z13cuda_mat_J_PIPKdPKiiS0_PdS0_
    .private_segment_fixed_size: 512
    .sgpr_count:     106
    .sgpr_spill_count: 36
    .symbol:         _Z13cuda_mat_J_PIPKdPKiiS0_PdS0_.kd
    .uniform_work_group_size: 1
    .uses_dynamic_stack: false
    .vgpr_count:     64
    .vgpr_spill_count: 13
    .wavefront_size: 64
  - .args:
      - .actual_access:  read_only
        .address_space:  global
        .offset:         0
        .size:           8
        .value_kind:     global_buffer
      - .actual_access:  read_only
        .address_space:  global
        .offset:         8
        .size:           8
        .value_kind:     global_buffer
      - .offset:         16
        .size:           4
        .value_kind:     by_value
      - .actual_access:  read_only
        .address_space:  global
        .offset:         24
        .size:           8
        .value_kind:     global_buffer
      - .actual_access:  write_only
        .address_space:  global
        .offset:         32
        .size:           8
        .value_kind:     global_buffer
      - .actual_access:  read_only
        .address_space:  global
        .offset:         40
        .size:           8
        .value_kind:     global_buffer
    .group_segment_fixed_size: 512
    .kernarg_segment_align: 8
    .kernarg_segment_size: 48
    .language:       OpenCL C
    .language_version:
      - 2
      - 0
    .max_flat_workgroup_size: 1024
    .name:           _Z13cuda_mat_K_PIPKdPKiiS0_PdS0_
    .private_segment_fixed_size: 512
    .sgpr_count:     106
    .sgpr_spill_count: 36
    .symbol:         _Z13cuda_mat_K_PIPKdPKiiS0_PdS0_.kd
    .uniform_work_group_size: 1
    .uses_dynamic_stack: false
    .vgpr_count:     64
    .vgpr_spill_count: 15
    .wavefront_size: 64
amdhsa.target:   amdgcn-amd-amdhsa--gfx906
amdhsa.version:
  - 1
  - 2
...

	.end_amdgpu_metadata
